;; amdgpu-corpus repo=ROCm/rocFFT kind=compiled arch=gfx950 opt=O3
	.text
	.amdgcn_target "amdgcn-amd-amdhsa--gfx950"
	.amdhsa_code_object_version 6
	.protected	bluestein_single_back_len52_dim1_sp_op_CI_CI ; -- Begin function bluestein_single_back_len52_dim1_sp_op_CI_CI
	.globl	bluestein_single_back_len52_dim1_sp_op_CI_CI
	.p2align	8
	.type	bluestein_single_back_len52_dim1_sp_op_CI_CI,@function
bluestein_single_back_len52_dim1_sp_op_CI_CI: ; @bluestein_single_back_len52_dim1_sp_op_CI_CI
; %bb.0:
	s_load_dwordx4 s[12:15], s[0:1], 0x28
	v_lshrrev_b32_e32 v1, 2, v0
	v_mov_b32_e32 v75, 0
	v_lshl_or_b32 v72, s2, 4, v1
	v_mov_b32_e32 v73, v75
	s_waitcnt lgkmcnt(0)
	v_cmp_gt_u64_e32 vcc, s[12:13], v[72:73]
	s_and_saveexec_b64 s[2:3], vcc
	s_cbranch_execz .LBB0_10
; %bb.1:
	s_load_dwordx4 s[4:7], s[0:1], 0x18
	s_load_dwordx4 s[8:11], s[0:1], 0x0
	v_and_b32_e32 v73, 3, v0
	v_mov_b32_e32 v2, s14
	v_mov_b32_e32 v3, s15
	s_waitcnt lgkmcnt(0)
	s_load_dwordx4 s[16:19], s[4:5], 0x0
	v_lshlrev_b32_e32 v74, 3, v73
	v_mul_u32_u24_e32 v126, 52, v1
	v_lshl_or_b32 v158, v126, 3, v74
	s_mov_b32 s12, 0xbeedf032
	s_waitcnt lgkmcnt(0)
	v_mad_u64_u32 v[4:5], s[2:3], s18, v72, 0
	v_mad_u64_u32 v[6:7], s[2:3], s16, v73, 0
	v_mov_b32_e32 v0, v5
	v_mad_u64_u32 v[8:9], s[2:3], s19, v72, v[0:1]
	v_mov_b32_e32 v0, v7
	v_mov_b32_e32 v5, v8
	v_mad_u64_u32 v[8:9], s[2:3], s17, v73, v[0:1]
	v_mov_b32_e32 v7, v8
	v_lshl_add_u64 v[2:3], v[4:5], 3, v[2:3]
	v_lshl_add_u64 v[2:3], v[6:7], 3, v[2:3]
	s_lshl_b64 s[2:3], s[16:17], 5
	global_load_dwordx2 v[70:71], v74, s[8:9]
	global_load_dwordx2 v[4:5], v[2:3], off
	v_lshl_add_u64 v[2:3], v[2:3], 0, s[2:3]
	global_load_dwordx2 v[6:7], v[2:3], off
	global_load_dwordx2 v[68:69], v74, s[8:9] offset:32
	v_lshl_add_u64 v[2:3], v[2:3], 0, s[2:3]
	global_load_dwordx2 v[64:65], v74, s[8:9] offset:64
	global_load_dwordx2 v[8:9], v[2:3], off
	v_lshl_add_u64 v[2:3], v[2:3], 0, s[2:3]
	global_load_dwordx2 v[10:11], v[2:3], off
	global_load_dwordx2 v[66:67], v74, s[8:9] offset:96
	v_lshl_add_u64 v[2:3], v[2:3], 0, s[2:3]
	global_load_dwordx2 v[12:13], v[2:3], off
	global_load_dwordx2 v[62:63], v74, s[8:9] offset:128
	;; [unrolled: 3-line block ×4, first 2 shown]
	global_load_dwordx2 v[56:57], v74, s[8:9] offset:224
	v_lshl_add_u64 v[2:3], v[2:3], 0, s[2:3]
	global_load_dwordx2 v[18:19], v[2:3], off
	v_lshl_add_u64 v[2:3], v[2:3], 0, s[2:3]
	global_load_dwordx2 v[20:21], v[2:3], off
	global_load_dwordx2 v[54:55], v74, s[8:9] offset:256
	v_lshl_add_u64 v[2:3], v[2:3], 0, s[2:3]
	global_load_dwordx2 v[22:23], v[2:3], off
	global_load_dwordx2 v[52:53], v74, s[8:9] offset:288
	;; [unrolled: 3-line block ×3, first 2 shown]
	global_load_dwordx2 v[48:49], v74, s[8:9] offset:352
	v_lshl_add_u64 v[2:3], v[2:3], 0, s[2:3]
	global_load_dwordx2 v[26:27], v[2:3], off
	global_load_dwordx2 v[46:47], v74, s[8:9] offset:384
	v_lshl_add_u64 v[2:3], v[2:3], 0, s[2:3]
	global_load_dwordx2 v[2:3], v[2:3], off
	v_or_b32_e32 v0, v126, v73
	v_lshlrev_b32_e32 v159, 3, v0
	s_load_dwordx4 s[4:7], s[6:7], 0x0
	s_mov_b32 s20, 0x3f62ad3f
	s_mov_b32 s24, 0x3f116cb1
	;; [unrolled: 1-line block ×14, first 2 shown]
	s_load_dwordx2 s[0:1], s[0:1], 0x38
	v_cmp_eq_u32_e32 vcc, 0, v73
	v_lshlrev_b32_e32 v161, 3, v126
	s_waitcnt vmcnt(24)
	v_mul_f32_e32 v0, v5, v71
	v_mul_f32_e32 v1, v4, v71
	v_fmac_f32_e32 v0, v4, v70
	v_fma_f32 v1, v5, v70, -v1
	s_waitcnt vmcnt(22)
	v_mul_f32_e32 v4, v7, v69
	v_mul_f32_e32 v5, v6, v69
	ds_write_b64 v159, v[0:1]
	s_waitcnt vmcnt(20)
	v_mul_f32_e32 v0, v9, v65
	v_mul_f32_e32 v1, v8, v65
	v_fmac_f32_e32 v4, v6, v68
	v_fma_f32 v5, v7, v68, -v5
	v_fmac_f32_e32 v0, v8, v64
	v_fma_f32 v1, v9, v64, -v1
	s_waitcnt vmcnt(18)
	v_mul_f32_e32 v6, v11, v67
	v_mul_f32_e32 v7, v10, v67
	ds_write2_b64 v158, v[4:5], v[0:1] offset0:4 offset1:8
	s_waitcnt vmcnt(16)
	v_mul_f32_e32 v0, v13, v63
	v_mul_f32_e32 v1, v12, v63
	v_fmac_f32_e32 v6, v10, v66
	v_fma_f32 v7, v11, v66, -v7
	v_fmac_f32_e32 v0, v12, v62
	v_fma_f32 v1, v13, v62, -v1
	s_waitcnt vmcnt(14)
	v_mul_f32_e32 v4, v15, v61
	v_mul_f32_e32 v5, v14, v61
	ds_write2_b64 v158, v[6:7], v[0:1] offset0:12 offset1:16
	;; [unrolled: 11-line block ×3, first 2 shown]
	s_waitcnt vmcnt(8)
	v_mul_f32_e32 v0, v21, v55
	v_mul_f32_e32 v1, v20, v55
	v_fmac_f32_e32 v6, v18, v56
	v_fma_f32 v7, v19, v56, -v7
	v_fmac_f32_e32 v0, v20, v54
	v_fma_f32 v1, v21, v54, -v1
	ds_write2_b64 v158, v[6:7], v[0:1] offset0:28 offset1:32
	s_waitcnt vmcnt(6)
	v_mul_f32_e32 v0, v22, v53
	v_mul_f32_e32 v4, v23, v53
	v_fma_f32 v5, v23, v52, -v0
	s_waitcnt vmcnt(4)
	v_mul_f32_e32 v0, v25, v51
	v_mul_f32_e32 v1, v24, v51
	v_fmac_f32_e32 v4, v22, v52
	v_fmac_f32_e32 v0, v24, v50
	v_fma_f32 v1, v25, v50, -v1
	ds_write2_b64 v158, v[4:5], v[0:1] offset0:36 offset1:40
	s_waitcnt vmcnt(0)
	v_mul_f32_e32 v4, v3, v47
	v_mul_f32_e32 v0, v27, v49
	;; [unrolled: 1-line block ×3, first 2 shown]
	v_fmac_f32_e32 v4, v2, v46
	v_mul_f32_e32 v2, v2, v47
	v_fmac_f32_e32 v0, v26, v48
	v_fma_f32 v1, v27, v48, -v1
	v_fma_f32 v5, v3, v46, -v2
	ds_write2_b64 v158, v[0:1], v[4:5] offset0:44 offset1:48
	s_waitcnt lgkmcnt(0)
	; wave barrier
	s_waitcnt lgkmcnt(0)
	ds_read2_b64 v[2:5], v158 offset0:12 offset1:16
	ds_read2_b64 v[6:9], v158 offset0:36 offset1:40
	;; [unrolled: 1-line block ×3, first 2 shown]
	ds_read_b64 v[0:1], v159
	ds_read2_b64 v[14:17], v158 offset0:20 offset1:24
	ds_read2_b64 v[32:35], v158 offset0:28 offset1:32
	s_waitcnt lgkmcnt(4)
	v_pk_add_f32 v[20:21], v[8:9], v[2:3]
	v_pk_add_f32 v[24:25], v[2:3], v[8:9] neg_lo:[0,1] neg_hi:[0,1]
	s_waitcnt lgkmcnt(2)
	v_pk_add_f32 v[22:23], v[0:1], v[10:11]
	ds_read2_b64 v[38:41], v158 offset0:44 offset1:48
	v_pk_add_f32 v[22:23], v[22:23], v[12:13]
	v_pk_add_f32 v[28:29], v[6:7], v[4:5]
	;; [unrolled: 1-line block ×3, first 2 shown]
	v_pk_add_f32 v[30:31], v[4:5], v[6:7] neg_lo:[0,1] neg_hi:[0,1]
	v_pk_add_f32 v[2:3], v[2:3], v[4:5]
	s_waitcnt lgkmcnt(0)
	v_pk_add_f32 v[76:77], v[10:11], v[40:41] neg_lo:[0,1] neg_hi:[0,1]
	v_pk_add_f32 v[2:3], v[2:3], v[14:15]
	v_pk_add_f32 v[80:81], v[40:41], v[10:11]
	;; [unrolled: 1-line block ×3, first 2 shown]
	v_pk_add_f32 v[100:101], v[12:13], v[38:39] neg_lo:[0,1] neg_hi:[0,1]
	v_pk_add_f32 v[2:3], v[2:3], v[32:33]
	v_pk_add_f32 v[98:99], v[38:39], v[12:13]
	;; [unrolled: 1-line block ×3, first 2 shown]
	v_pk_mul_f32 v[18:19], v[24:25], s[2:3] op_sel_hi:[1,0]
	v_pk_add_f32 v[2:3], v[2:3], v[6:7]
	v_pk_add_f32 v[36:37], v[34:35], v[14:15]
	;; [unrolled: 1-line block ×3, first 2 shown]
	v_pk_add_f32 v[42:43], v[14:15], v[34:35] neg_lo:[0,1] neg_hi:[0,1]
	v_pk_add_f32 v[2:3], v[2:3], v[38:39]
	v_pk_add_f32 v[90:91], v[32:33], v[16:17]
	;; [unrolled: 1-line block ×3, first 2 shown]
	v_pk_mul_f32 v[2:3], v[76:77], s[12:13] op_sel:[1,0] op_sel_hi:[0,0]
	s_mov_b32 s12, 0xbf52af12
	v_pk_fma_f32 v[10:11], v[80:81], s[20:21], v[2:3] op_sel_hi:[1,0,1] neg_lo:[0,0,1] neg_hi:[0,0,1]
	v_pk_fma_f32 v[2:3], v[80:81], s[20:21], v[2:3] op_sel_hi:[1,0,1]
	v_pk_mul_f32 v[6:7], v[100:101], s[12:13] op_sel_hi:[1,0]
	v_mov_b32_e32 v5, v11
	v_pk_fma_f32 v[12:13], v[98:99], s[24:25], v[6:7] op_sel:[0,0,1] op_sel_hi:[1,0,0] neg_lo:[0,0,1] neg_hi:[0,0,1]
	v_pk_fma_f32 v[6:7], v[98:99], s[24:25], v[6:7] op_sel:[0,0,1] op_sel_hi:[1,0,0]
	v_mov_b32_e32 v11, v3
	v_mov_b32_e32 v9, v13
	v_pk_add_f32 v[10:11], v[0:1], v[10:11]
	v_mov_b32_e32 v13, v7
	v_pk_add_f32 v[92:93], v[16:17], v[32:33] neg_lo:[0,1] neg_hi:[0,1]
	v_pk_add_f32 v[14:15], v[12:13], v[10:11]
	v_pk_fma_f32 v[16:17], v[20:21], s[14:15], v[18:19] op_sel:[0,0,1] op_sel_hi:[1,0,0] neg_lo:[0,0,1] neg_hi:[0,0,1]
	v_pk_fma_f32 v[12:13], v[20:21], s[14:15], v[18:19] op_sel:[0,0,1] op_sel_hi:[1,0,0]
	v_mov_b32_e32 v11, v17
	v_mov_b32_e32 v17, v13
	v_pk_add_f32 v[18:19], v[16:17], v[14:15]
	v_pk_mul_f32 v[14:15], v[30:31], s[16:17] op_sel_hi:[1,0]
	v_mul_u32_u24_e32 v3, 13, v73
	v_pk_fma_f32 v[22:23], v[28:29], s[28:29], v[14:15] op_sel:[0,0,1] op_sel_hi:[1,0,0] neg_lo:[0,0,1] neg_hi:[0,0,1]
	v_pk_fma_f32 v[16:17], v[28:29], s[28:29], v[14:15] op_sel:[0,0,1] op_sel_hi:[1,0,0]
	v_mov_b32_e32 v15, v23
	v_mov_b32_e32 v23, v17
	v_pk_add_f32 v[22:23], v[22:23], v[18:19]
	v_pk_mul_f32 v[18:19], v[42:43], s[18:19] op_sel_hi:[1,0]
	v_add_lshl_u32 v160, v126, v3, 3
	v_pk_fma_f32 v[32:33], v[36:37], s[30:31], v[18:19] op_sel:[0,0,1] op_sel_hi:[1,0,0] neg_lo:[0,0,1] neg_hi:[0,0,1]
	v_pk_fma_f32 v[18:19], v[36:37], s[30:31], v[18:19] op_sel:[0,0,1] op_sel_hi:[1,0,0]
	v_mov_b32_e32 v17, v33
	v_mov_b32_e32 v33, v19
	v_pk_add_f32 v[32:33], v[32:33], v[22:23]
	v_pk_mul_f32 v[22:23], v[92:93], s[22:23] op_sel_hi:[1,0]
	s_nop 0
	v_pk_fma_f32 v[34:35], v[90:91], s[26:27], v[22:23] op_sel:[0,0,1] op_sel_hi:[1,0,0] neg_lo:[0,0,1] neg_hi:[0,0,1]
	v_pk_fma_f32 v[22:23], v[90:91], s[26:27], v[22:23] op_sel:[0,0,1] op_sel_hi:[1,0,0]
	v_mov_b32_e32 v13, v35
	v_mov_b32_e32 v35, v23
	v_pk_add_f32 v[32:33], v[34:35], v[32:33]
	; wave barrier
	ds_write2_b64 v160, v[26:27], v[32:33] offset1:1
	v_mov_b32_e32 v27, v81
	v_mov_b32_e32 v81, v76
	s_mov_b32 s25, s12
	v_mov_b32_e32 v26, v77
	s_mov_b32 s13, s24
	v_pk_mul_f32 v[34:35], v[80:81], s[24:25]
	v_pk_mul_f32 v[40:41], v[100:101], s[16:17] op_sel_hi:[1,0]
	v_pk_fma_f32 v[38:39], v[76:77], s[12:13], v[34:35] op_sel:[1,0,0] op_sel_hi:[0,1,1] neg_lo:[1,0,0] neg_hi:[1,0,0]
	v_pk_fma_f32 v[32:33], v[26:27], s[12:13], v[34:35]
	s_mov_b32 s3, s14
	v_mov_b32_e32 v39, v33
	v_pk_add_f32 v[44:45], v[0:1], v[38:39]
	v_pk_fma_f32 v[38:39], v[98:99], s[28:29], v[40:41] op_sel:[0,0,1] op_sel_hi:[1,0,0] neg_lo:[0,0,1] neg_hi:[0,0,1]
	v_pk_fma_f32 v[40:41], v[98:99], s[28:29], v[40:41] op_sel:[0,0,1] op_sel_hi:[1,0,0]
	v_mov_b32_e32 v78, v38
	v_mov_b32_e32 v79, v41
	v_pk_add_f32 v[78:79], v[78:79], v[44:45]
	v_pk_mul_f32 v[44:45], v[24:25], s[22:23] op_sel_hi:[1,0]
	s_mov_b32 s17, s28
	v_pk_fma_f32 v[84:85], v[20:21], s[26:27], v[44:45] op_sel:[0,0,1] op_sel_hi:[1,0,0] neg_lo:[0,0,1] neg_hi:[0,0,1]
	v_pk_fma_f32 v[44:45], v[20:21], s[26:27], v[44:45] op_sel:[0,0,1] op_sel_hi:[1,0,0]
	v_mov_b32_e32 v82, v84
	v_mov_b32_e32 v83, v45
	v_pk_add_f32 v[82:83], v[82:83], v[78:79]
	v_pk_mul_f32 v[78:79], v[30:31], s[38:39] op_sel_hi:[1,0]
	v_pk_mul_f32 v[134:135], v[100:101], s[38:39] op_sel_hi:[1,0]
	v_pk_fma_f32 v[86:87], v[28:29], s[30:31], v[78:79] op_sel:[0,0,1] op_sel_hi:[1,0,0] neg_lo:[0,0,1] neg_hi:[0,0,1]
	v_pk_fma_f32 v[78:79], v[28:29], s[30:31], v[78:79] op_sel:[0,0,1] op_sel_hi:[1,0,0]
	v_mov_b32_e32 v88, v86
	v_mov_b32_e32 v89, v79
	v_pk_add_f32 v[88:89], v[88:89], v[82:83]
	v_pk_mul_f32 v[82:83], v[42:43], s[36:37] op_sel_hi:[1,0]
	v_pk_fma_f32 v[136:137], v[98:99], s[30:31], v[134:135] op_sel:[0,0,1] op_sel_hi:[1,0,0] neg_lo:[0,0,1] neg_hi:[0,0,1]
	v_pk_fma_f32 v[94:95], v[36:37], s[14:15], v[82:83] op_sel:[0,0,1] op_sel_hi:[1,0,0] neg_lo:[0,0,1] neg_hi:[0,0,1]
	v_pk_fma_f32 v[82:83], v[36:37], s[14:15], v[82:83] op_sel:[0,0,1] op_sel_hi:[1,0,0]
	v_mov_b32_e32 v96, v94
	v_mov_b32_e32 v97, v83
	v_pk_add_f32 v[102:103], v[96:97], v[88:89]
	v_pk_mul_f32 v[88:89], v[92:93], s[34:35] op_sel_hi:[1,0]
	s_mov_b32 s15, s2
	v_pk_fma_f32 v[96:97], v[90:91], s[20:21], v[88:89] op_sel:[0,0,1] op_sel_hi:[1,0,0] neg_lo:[0,0,1] neg_hi:[0,0,1]
	v_pk_fma_f32 v[88:89], v[90:91], s[20:21], v[88:89] op_sel:[0,0,1] op_sel_hi:[1,0,0]
	v_mov_b32_e32 v104, v96
	v_mov_b32_e32 v105, v89
	v_pk_add_f32 v[128:129], v[104:105], v[102:103]
	v_pk_mul_f32 v[104:105], v[80:81], s[14:15]
	v_pk_fma_f32 v[134:135], v[98:99], s[30:31], v[134:135] op_sel:[0,0,1] op_sel_hi:[1,0,0]
	v_pk_fma_f32 v[106:107], v[76:77], s[2:3], v[104:105] op_sel:[1,0,0] op_sel_hi:[0,1,1] neg_lo:[1,0,0] neg_hi:[1,0,0]
	v_pk_fma_f32 v[102:103], v[26:27], s[2:3], v[104:105]
	v_mov_b32_e32 v138, v136
	v_mov_b32_e32 v107, v103
	v_pk_add_f32 v[110:111], v[0:1], v[106:107]
	v_pk_mul_f32 v[106:107], v[100:101], s[22:23] op_sel_hi:[1,0]
	v_mov_b32_e32 v139, v135
	v_pk_fma_f32 v[108:109], v[98:99], s[26:27], v[106:107] op_sel:[0,0,1] op_sel_hi:[1,0,0] neg_lo:[0,0,1] neg_hi:[0,0,1]
	v_pk_fma_f32 v[106:107], v[98:99], s[26:27], v[106:107] op_sel:[0,0,1] op_sel_hi:[1,0,0]
	v_mov_b32_e32 v112, v108
	v_mov_b32_e32 v113, v107
	v_pk_add_f32 v[112:113], v[112:113], v[110:111]
	v_pk_mul_f32 v[110:111], v[24:25], s[40:41] op_sel_hi:[1,0]
	s_mov_b32 s38, 0x3e750f2a
	v_pk_fma_f32 v[118:119], v[20:21], s[28:29], v[110:111] op_sel:[0,0,1] op_sel_hi:[1,0,0] neg_lo:[0,0,1] neg_hi:[0,0,1]
	v_pk_fma_f32 v[110:111], v[20:21], s[28:29], v[110:111] op_sel:[0,0,1] op_sel_hi:[1,0,0]
	v_mov_b32_e32 v114, v118
	v_mov_b32_e32 v115, v111
	v_pk_add_f32 v[114:115], v[114:115], v[112:113]
	v_pk_mul_f32 v[112:113], v[30:31], s[34:35] op_sel_hi:[1,0]
	s_mov_b32 s29, s16
	;; [unrolled: 7-line block ×4, first 2 shown]
	v_pk_fma_f32 v[124:125], v[90:91], s[30:31], v[116:117] op_sel:[0,0,1] op_sel_hi:[1,0,0] neg_lo:[0,0,1] neg_hi:[0,0,1]
	v_pk_fma_f32 v[116:117], v[90:91], s[30:31], v[116:117] op_sel:[0,0,1] op_sel_hi:[1,0,0]
	v_mov_b32_e32 v132, v124
	v_mov_b32_e32 v133, v117
	v_pk_add_f32 v[130:131], v[132:133], v[130:131]
	ds_write2_b64 v160, v[128:129], v[130:131] offset0:2 offset1:3
	v_pk_mul_f32 v[128:129], v[80:81], s[28:29]
	s_mov_b32 s31, s18
	v_pk_fma_f32 v[130:131], v[76:77], s[16:17], v[128:129] op_sel:[1,0,0] op_sel_hi:[0,1,1] neg_lo:[1,0,0] neg_hi:[1,0,0]
	v_pk_fma_f32 v[132:133], v[26:27], s[16:17], v[128:129]
	v_pk_mul_f32 v[164:165], v[100:101], s[36:37] op_sel_hi:[1,0]
	v_mov_b32_e32 v131, v133
	v_pk_add_f32 v[130:131], v[0:1], v[130:131]
	v_pk_fma_f32 v[166:167], v[98:99], s[14:15], v[164:165] op_sel:[0,0,1] op_sel_hi:[1,0,0] neg_lo:[0,0,1] neg_hi:[0,0,1]
	v_pk_add_f32 v[130:131], v[138:139], v[130:131]
	v_pk_mul_f32 v[138:139], v[24:25], s[34:35] op_sel_hi:[1,0]
	v_pk_fma_f32 v[164:165], v[98:99], s[14:15], v[164:165] op_sel:[0,0,1] op_sel_hi:[1,0,0]
	v_pk_fma_f32 v[140:141], v[20:21], s[20:21], v[138:139] op_sel:[0,0,1] op_sel_hi:[1,0,0] neg_lo:[0,0,1] neg_hi:[0,0,1]
	v_pk_fma_f32 v[138:139], v[20:21], s[20:21], v[138:139] op_sel:[0,0,1] op_sel_hi:[1,0,0]
	v_mov_b32_e32 v142, v140
	v_mov_b32_e32 v143, v139
	v_pk_add_f32 v[130:131], v[142:143], v[130:131]
	v_pk_mul_f32 v[142:143], v[30:31], s[2:3] op_sel_hi:[1,0]
	v_mov_b32_e32 v168, v166
	v_pk_fma_f32 v[144:145], v[28:29], s[14:15], v[142:143] op_sel:[0,0,1] op_sel_hi:[1,0,0] neg_lo:[0,0,1] neg_hi:[0,0,1]
	v_pk_fma_f32 v[142:143], v[28:29], s[14:15], v[142:143] op_sel:[0,0,1] op_sel_hi:[1,0,0]
	v_mov_b32_e32 v146, v144
	v_mov_b32_e32 v147, v143
	v_pk_add_f32 v[130:131], v[146:147], v[130:131]
	v_pk_mul_f32 v[146:147], v[42:43], s[38:39] op_sel_hi:[1,0]
	v_mov_b32_e32 v169, v165
	v_pk_fma_f32 v[148:149], v[36:37], s[26:27], v[146:147] op_sel:[0,0,1] op_sel_hi:[1,0,0] neg_lo:[0,0,1] neg_hi:[0,0,1]
	v_pk_fma_f32 v[146:147], v[36:37], s[26:27], v[146:147] op_sel:[0,0,1] op_sel_hi:[1,0,0]
	v_mov_b32_e32 v150, v148
	v_mov_b32_e32 v151, v147
	v_pk_add_f32 v[130:131], v[150:151], v[130:131]
	v_pk_mul_f32 v[150:151], v[92:93], s[40:41] op_sel_hi:[1,0]
	s_mov_b32 s23, s26
	v_pk_fma_f32 v[152:153], v[90:91], s[24:25], v[150:151] op_sel:[0,0,1] op_sel_hi:[1,0,0] neg_lo:[0,0,1] neg_hi:[0,0,1]
	v_pk_fma_f32 v[150:151], v[90:91], s[24:25], v[150:151] op_sel:[0,0,1] op_sel_hi:[1,0,0]
	v_mov_b32_e32 v154, v152
	v_mov_b32_e32 v155, v151
	v_pk_add_f32 v[130:131], v[154:155], v[130:131]
	v_pk_mul_f32 v[154:155], v[80:81], s[30:31]
	v_mov_b32_e32 v4, v2
	v_pk_fma_f32 v[156:157], v[76:77], s[18:19], v[154:155] op_sel:[1,0,0] op_sel_hi:[0,1,1] neg_lo:[1,0,0] neg_hi:[1,0,0]
	v_pk_fma_f32 v[162:163], v[26:27], s[18:19], v[154:155]
	v_mov_b32_e32 v8, v6
	v_mov_b32_e32 v157, v163
	v_pk_add_f32 v[156:157], v[0:1], v[156:157]
	v_pk_add_f32 v[2:3], v[0:1], v[4:5]
	;; [unrolled: 1-line block ×3, first 2 shown]
	v_pk_mul_f32 v[168:169], v[24:25], s[12:13] op_sel_hi:[1,0]
	v_pk_mul_f32 v[24:25], v[24:25], s[18:19] op_sel_hi:[1,0]
	v_pk_fma_f32 v[170:171], v[20:21], s[24:25], v[168:169] op_sel:[0,0,1] op_sel_hi:[1,0,0] neg_lo:[0,0,1] neg_hi:[0,0,1]
	v_pk_fma_f32 v[168:169], v[20:21], s[24:25], v[168:169] op_sel:[0,0,1] op_sel_hi:[1,0,0]
	v_mov_b32_e32 v172, v170
	v_mov_b32_e32 v173, v169
	v_pk_add_f32 v[156:157], v[172:173], v[156:157]
	v_pk_mul_f32 v[172:173], v[30:31], s[38:39] op_sel_hi:[1,0]
	v_pk_fma_f32 v[4:5], v[26:27], s[2:3], v[104:105] neg_lo:[0,0,1] neg_hi:[0,0,1]
	v_pk_fma_f32 v[174:175], v[28:29], s[26:27], v[172:173] op_sel:[0,0,1] op_sel_hi:[1,0,0] neg_lo:[0,0,1] neg_hi:[0,0,1]
	v_pk_fma_f32 v[172:173], v[28:29], s[26:27], v[172:173] op_sel:[0,0,1] op_sel_hi:[1,0,0]
	v_mov_b32_e32 v176, v174
	v_mov_b32_e32 v177, v173
	v_pk_add_f32 v[156:157], v[176:177], v[156:157]
	v_pk_mul_f32 v[176:177], v[42:43], s[34:35] op_sel_hi:[1,0]
	s_mov_b32 s27, s22
	v_pk_fma_f32 v[178:179], v[36:37], s[20:21], v[176:177] op_sel:[0,0,1] op_sel_hi:[1,0,0] neg_lo:[0,0,1] neg_hi:[0,0,1]
	v_pk_fma_f32 v[176:177], v[36:37], s[20:21], v[176:177] op_sel:[0,0,1] op_sel_hi:[1,0,0]
	v_mov_b32_e32 v180, v178
	v_mov_b32_e32 v181, v177
	v_pk_add_f32 v[156:157], v[180:181], v[156:157]
	v_pk_mul_f32 v[180:181], v[92:93], s[16:17] op_sel_hi:[1,0]
	v_pk_mul_f32 v[80:81], v[80:81], s[26:27]
	v_pk_fma_f32 v[182:183], v[90:91], s[28:29], v[180:181] op_sel:[0,0,1] op_sel_hi:[1,0,0] neg_lo:[0,0,1] neg_hi:[0,0,1]
	v_pk_fma_f32 v[180:181], v[90:91], s[28:29], v[180:181] op_sel:[0,0,1] op_sel_hi:[1,0,0]
	v_mov_b32_e32 v184, v182
	v_mov_b32_e32 v185, v181
	v_pk_add_f32 v[156:157], v[184:185], v[156:157]
	ds_write2_b64 v160, v[130:131], v[156:157] offset0:4 offset1:5
	v_pk_fma_f32 v[130:131], v[20:21], s[30:31], v[24:25] op_sel:[0,0,1] op_sel_hi:[1,0,0] neg_lo:[0,0,1] neg_hi:[0,0,1]
	v_pk_fma_f32 v[20:21], v[20:21], s[30:31], v[24:25] op_sel:[0,0,1] op_sel_hi:[1,0,0]
	v_pk_mul_f32 v[24:25], v[30:31], s[40:41] op_sel_hi:[1,0]
	v_pk_fma_f32 v[76:77], v[76:77], s[22:23], v[80:81] op_sel:[1,0,0] op_sel_hi:[0,1,1] neg_lo:[1,0,0] neg_hi:[1,0,0]
	v_pk_fma_f32 v[30:31], v[28:29], s[24:25], v[24:25] op_sel:[0,0,1] op_sel_hi:[1,0,0] neg_lo:[0,0,1] neg_hi:[0,0,1]
	v_pk_fma_f32 v[24:25], v[28:29], s[24:25], v[24:25] op_sel:[0,0,1] op_sel_hi:[1,0,0]
	v_pk_mul_f32 v[28:29], v[42:43], s[16:17] op_sel_hi:[1,0]
	v_mov_b32_e32 v10, v12
	v_pk_fma_f32 v[42:43], v[36:37], s[28:29], v[28:29] op_sel:[0,0,1] op_sel_hi:[1,0,0] neg_lo:[0,0,1] neg_hi:[0,0,1]
	v_pk_fma_f32 v[28:29], v[36:37], s[28:29], v[28:29] op_sel:[0,0,1] op_sel_hi:[1,0,0]
	v_pk_mul_f32 v[36:37], v[92:93], s[36:37] op_sel_hi:[1,0]
	v_pk_add_f32 v[2:3], v[8:9], v[2:3]
	v_pk_fma_f32 v[92:93], v[90:91], s[14:15], v[36:37] op_sel:[0,0,1] op_sel_hi:[1,0,0] neg_lo:[0,0,1] neg_hi:[0,0,1]
	v_pk_fma_f32 v[36:37], v[90:91], s[14:15], v[36:37] op_sel:[0,0,1] op_sel_hi:[1,0,0]
	v_pk_mul_f32 v[90:91], v[100:101], s[34:35] op_sel_hi:[1,0]
	v_mov_b32_e32 v103, v5
	v_pk_fma_f32 v[100:101], v[98:99], s[20:21], v[90:91] op_sel:[0,0,1] op_sel_hi:[1,0,0] neg_lo:[0,0,1] neg_hi:[0,0,1]
	v_pk_fma_f32 v[90:91], v[98:99], s[20:21], v[90:91] op_sel:[0,0,1] op_sel_hi:[1,0,0]
	v_pk_fma_f32 v[98:99], v[26:27], s[22:23], v[80:81]
	v_mov_b32_e32 v156, v100
	v_mov_b32_e32 v77, v99
	v_pk_add_f32 v[76:77], v[0:1], v[76:77]
	v_mov_b32_e32 v157, v91
	v_pk_add_f32 v[76:77], v[156:157], v[76:77]
	v_mov_b32_e32 v156, v130
	v_mov_b32_e32 v157, v21
	v_pk_add_f32 v[76:77], v[156:157], v[76:77]
	v_mov_b32_e32 v156, v30
	v_mov_b32_e32 v157, v25
	;; [unrolled: 1-line block ×3, first 2 shown]
	v_pk_fma_f32 v[30:31], v[26:27], s[22:23], v[80:81] neg_lo:[0,0,1] neg_hi:[0,0,1]
	v_mov_b32_e32 v91, v101
	v_mov_b32_e32 v99, v31
	v_pk_add_f32 v[30:31], v[0:1], v[98:99]
	v_mov_b32_e32 v21, v131
	v_pk_add_f32 v[30:31], v[90:91], v[30:31]
	v_pk_add_f32 v[76:77], v[156:157], v[76:77]
	;; [unrolled: 1-line block ×3, first 2 shown]
	v_mov_b32_e32 v156, v42
	v_mov_b32_e32 v157, v29
	;; [unrolled: 1-line block ×3, first 2 shown]
	v_pk_add_f32 v[20:21], v[24:25], v[20:21]
	v_mov_b32_e32 v14, v16
	v_pk_add_f32 v[2:3], v[10:11], v[2:3]
	v_mov_b32_e32 v107, v109
	v_pk_add_f32 v[4:5], v[0:1], v[102:103]
	v_pk_add_f32 v[76:77], v[156:157], v[76:77]
	v_mov_b32_e32 v156, v92
	v_mov_b32_e32 v157, v37
	;; [unrolled: 1-line block ×3, first 2 shown]
	v_pk_add_f32 v[20:21], v[28:29], v[20:21]
	v_mov_b32_e32 v16, v18
	v_pk_add_f32 v[2:3], v[14:15], v[2:3]
	v_mov_b32_e32 v111, v119
	v_pk_add_f32 v[4:5], v[106:107], v[4:5]
	v_pk_add_f32 v[76:77], v[156:157], v[76:77]
	;; [unrolled: 1-line block ×3, first 2 shown]
	v_mov_b32_e32 v12, v22
	v_pk_add_f32 v[2:3], v[16:17], v[2:3]
	v_mov_b32_e32 v113, v121
	v_pk_add_f32 v[4:5], v[110:111], v[4:5]
	ds_write2_b64 v160, v[76:77], v[20:21] offset0:6 offset1:7
	v_pk_fma_f32 v[20:21], v[26:27], s[18:19], v[154:155] neg_lo:[0,0,1] neg_hi:[0,0,1]
	v_pk_fma_f32 v[24:25], v[26:27], s[16:17], v[128:129] neg_lo:[0,0,1] neg_hi:[0,0,1]
	v_pk_add_f32 v[22:23], v[12:13], v[2:3]
	v_pk_add_f32 v[2:3], v[112:113], v[4:5]
	v_pk_fma_f32 v[4:5], v[26:27], s[12:13], v[34:35] neg_lo:[0,0,1] neg_hi:[0,0,1]
	v_mov_b32_e32 v163, v21
	v_mov_b32_e32 v133, v25
	;; [unrolled: 1-line block ×4, first 2 shown]
	v_pk_add_f32 v[20:21], v[0:1], v[162:163]
	v_mov_b32_e32 v135, v137
	v_pk_add_f32 v[24:25], v[0:1], v[132:133]
	v_pk_add_f32 v[0:1], v[0:1], v[32:33]
	v_mov_b32_e32 v41, v39
	v_mov_b32_e32 v169, v171
	v_pk_add_f32 v[20:21], v[164:165], v[20:21]
	v_mov_b32_e32 v139, v141
	v_pk_add_f32 v[24:25], v[134:135], v[24:25]
	;; [unrolled: 2-line block ×8, first 2 shown]
	v_mov_b32_e32 v115, v123
	v_mov_b32_e32 v83, v95
	v_pk_add_f32 v[0:1], v[78:79], v[0:1]
	v_mov_b32_e32 v181, v183
	v_pk_add_f32 v[20:21], v[176:177], v[20:21]
	;; [unrolled: 2-line block ×5, first 2 shown]
	v_pk_add_f32 v[20:21], v[180:181], v[20:21]
	v_pk_add_f32 v[24:25], v[150:151], v[24:25]
	;; [unrolled: 1-line block ×4, first 2 shown]
	ds_write2_b64 v160, v[20:21], v[24:25] offset0:8 offset1:9
	ds_write2_b64 v160, v[2:3], v[0:1] offset0:10 offset1:11
	ds_write_b64 v160, v[22:23] offset:96
	s_waitcnt lgkmcnt(0)
	; wave barrier
	s_waitcnt lgkmcnt(0)
	ds_read2_b64 v[42:45], v158 offset0:13 offset1:17
	ds_read2_b64 v[30:33], v158 offset0:21 offset1:26
	;; [unrolled: 1-line block ×5, first 2 shown]
	ds_read_b64 v[16:17], v159
	ds_read_b64 v[96:97], v158 offset:376
                                        ; implicit-def: $vgpr36
                                        ; implicit-def: $vgpr100
	s_and_saveexec_b64 s[2:3], vcc
	s_cbranch_execz .LBB0_3
; %bb.2:
	ds_read2_b64 v[34:37], v161 offset0:38 offset1:51
	ds_read2_b64 v[22:25], v161 offset0:12 offset1:25
	s_waitcnt lgkmcnt(1)
	v_mov_b32_e32 v100, v35
.LBB0_3:
	s_or_b64 exec, exec, s[2:3]
	v_mad_u64_u32 v[84:85], s[2:3], v73, 24, s[10:11]
	v_mad_u64_u32 v[0:1], s[2:3], v73, 3, -3
	global_load_dwordx4 v[12:15], v[84:85], off
	global_load_dwordx4 v[8:11], v[84:85], off offset:96
	global_load_dwordx4 v[4:7], v[84:85], off offset:192
	global_load_dwordx2 v[80:81], v[84:85], off offset:16
	global_load_dwordx2 v[78:79], v[84:85], off offset:112
	v_cndmask_b32_e64 v1, v1, 0, vcc
	v_cndmask_b32_e64 v0, v0, 36, vcc
	v_lshl_add_u64 v[86:87], v[0:1], 3, s[10:11]
	global_load_dwordx4 v[0:3], v[86:87], off
	global_load_dwordx2 v[76:77], v[86:87], off offset:16
	global_load_dwordx2 v[82:83], v[84:85], off offset:208
	s_waitcnt lgkmcnt(0)
	v_mov_b32_e32 v102, v25
	v_mov_b32_e32 v104, v37
	v_lshl_add_u64 v[98:99], s[8:9], 0, v[74:75]
	s_waitcnt vmcnt(7)
	v_mov_b32_e32 v88, v15
	v_pk_mul_f32 v[106:107], v[42:43], v[12:13] op_sel:[0,1]
	s_waitcnt vmcnt(6)
	v_mov_b32_e32 v86, v11
	s_waitcnt vmcnt(4)
	v_pk_mul_f32 v[108:109], v[38:39], v[80:81] op_sel:[0,1]
	v_pk_mul_f32 v[110:111], v[44:45], v[8:9] op_sel:[0,1]
	s_waitcnt vmcnt(3)
	v_pk_mul_f32 v[112:113], v[40:41], v[78:79] op_sel:[0,1]
	v_pk_fma_f32 v[114:115], v[42:43], v[12:13], v[106:107] op_sel:[0,0,1] op_sel_hi:[1,1,0] neg_lo:[0,0,1] neg_hi:[0,0,1]
	v_pk_fma_f32 v[42:43], v[42:43], v[12:13], v[106:107] op_sel:[0,0,1] op_sel_hi:[1,0,0]
	v_pk_mul_f32 v[106:107], v[32:33], v[88:89] op_sel_hi:[1,0]
	v_pk_fma_f32 v[116:117], v[38:39], v[80:81], v[108:109] op_sel:[0,0,1] op_sel_hi:[1,1,0] neg_lo:[0,0,1] neg_hi:[0,0,1]
	v_pk_fma_f32 v[38:39], v[38:39], v[80:81], v[108:109] op_sel:[0,0,1] op_sel_hi:[1,0,0]
	v_pk_fma_f32 v[108:109], v[44:45], v[8:9], v[110:111] op_sel:[0,0,1] op_sel_hi:[1,1,0] neg_lo:[0,0,1] neg_hi:[0,0,1]
	v_pk_fma_f32 v[44:45], v[44:45], v[8:9], v[110:111] op_sel:[0,0,1] op_sel_hi:[1,0,0]
	v_pk_mul_f32 v[110:111], v[26:27], v[86:87] op_sel_hi:[1,0]
	v_pk_fma_f32 v[118:119], v[40:41], v[78:79], v[112:113] op_sel:[0,0,1] op_sel_hi:[1,1,0] neg_lo:[0,0,1] neg_hi:[0,0,1]
	v_pk_fma_f32 v[40:41], v[40:41], v[78:79], v[112:113] op_sel:[0,0,1] op_sel_hi:[1,0,0]
	s_waitcnt vmcnt(2)
	v_pk_mul_f32 v[112:113], v[24:25], v[0:1] op_sel_hi:[0,1]
	v_pk_mul_f32 v[100:101], v[100:101], v[2:3] op_sel_hi:[0,1]
	s_waitcnt vmcnt(1)
	v_pk_mul_f32 v[120:121], v[36:37], v[76:77] op_sel_hi:[0,1]
	v_mov_b32_e32 v115, v43
	v_pk_fma_f32 v[42:43], v[32:33], v[14:15], v[106:107] op_sel:[0,0,1] op_sel_hi:[1,1,0] neg_lo:[0,0,1] neg_hi:[0,0,1]
	v_pk_fma_f32 v[32:33], v[32:33], v[14:15], v[106:107] op_sel:[0,0,1] op_sel_hi:[1,0,0]
	v_mov_b32_e32 v117, v39
	v_mov_b32_e32 v109, v45
	v_pk_fma_f32 v[38:39], v[26:27], v[10:11], v[110:111] op_sel:[0,0,1] op_sel_hi:[1,1,0] neg_lo:[0,0,1] neg_hi:[0,0,1]
	v_pk_fma_f32 v[26:27], v[26:27], v[10:11], v[110:111] op_sel:[0,0,1] op_sel_hi:[1,0,0]
	v_mov_b32_e32 v119, v41
	v_pk_fma_f32 v[24:25], v[24:25], v[0:1], v[112:113] op_sel:[0,0,1] op_sel_hi:[1,1,0] neg_lo:[1,0,0] neg_hi:[1,0,0]
	v_pk_fma_f32 v[40:41], v[102:103], v[0:1], v[112:113] op_sel:[0,0,1] op_sel_hi:[0,1,0]
	v_pk_fma_f32 v[44:45], v[34:35], v[2:3], v[100:101] op_sel:[0,0,1] op_sel_hi:[0,1,0]
	v_pk_fma_f32 v[34:35], v[34:35], v[2:3], v[100:101] op_sel:[0,0,1] op_sel_hi:[0,1,0] neg_lo:[0,0,1] neg_hi:[0,0,1]
	v_pk_fma_f32 v[36:37], v[36:37], v[76:77], v[120:121] op_sel:[0,0,1] op_sel_hi:[1,1,0] neg_lo:[1,0,0] neg_hi:[1,0,0]
	v_pk_fma_f32 v[100:101], v[104:105], v[76:77], v[120:121] op_sel:[0,0,1] op_sel_hi:[0,1,0]
	v_mov_b32_e32 v43, v33
	v_pk_add_f32 v[32:33], v[114:115], v[116:117] neg_lo:[0,1] neg_hi:[0,1]
	v_mov_b32_e32 v39, v27
	v_mov_b32_e32 v41, v25
	;; [unrolled: 1-line block ×4, first 2 shown]
	v_pk_add_f32 v[24:25], v[16:17], v[42:43] neg_lo:[0,1] neg_hi:[0,1]
	v_pk_add_f32 v[26:27], v[108:109], v[118:119] neg_lo:[0,1] neg_hi:[0,1]
	v_pk_fma_f32 v[36:37], v[114:115], 2.0, v[32:33] op_sel_hi:[1,0,1] neg_lo:[0,0,1] neg_hi:[0,0,1]
	v_pk_add_f32 v[38:39], v[18:19], v[38:39] neg_lo:[0,1] neg_hi:[0,1]
	v_pk_add_f32 v[34:35], v[22:23], v[34:35] neg_lo:[0,1] neg_hi:[0,1]
	;; [unrolled: 1-line block ×3, first 2 shown]
	v_pk_fma_f32 v[16:17], v[16:17], 2.0, v[24:25] op_sel_hi:[1,0,1] neg_lo:[0,0,1] neg_hi:[0,0,1]
	v_pk_add_f32 v[100:101], v[24:25], v[32:33] op_sel:[0,1] op_sel_hi:[1,0] neg_lo:[0,1] neg_hi:[0,1]
	v_pk_add_f32 v[32:33], v[24:25], v[32:33] op_sel:[0,1] op_sel_hi:[1,0]
	v_pk_fma_f32 v[42:43], v[108:109], 2.0, v[26:27] op_sel_hi:[1,0,1] neg_lo:[0,0,1] neg_hi:[0,0,1]
	v_pk_fma_f32 v[102:103], v[18:19], 2.0, v[38:39] op_sel_hi:[1,0,1] neg_lo:[0,0,1] neg_hi:[0,0,1]
	v_pk_add_f32 v[104:105], v[38:39], v[26:27] op_sel:[0,1] op_sel_hi:[1,0] neg_lo:[0,1] neg_hi:[0,1]
	v_pk_add_f32 v[18:19], v[38:39], v[26:27] op_sel:[0,1] op_sel_hi:[1,0]
	v_pk_fma_f32 v[22:23], v[22:23], 2.0, v[34:35] op_sel_hi:[1,0,1] neg_lo:[0,0,1] neg_hi:[0,0,1]
	v_pk_fma_f32 v[26:27], v[40:41], 2.0, v[44:45] op_sel_hi:[1,0,1] neg_lo:[0,0,1] neg_hi:[0,0,1]
	v_pk_add_f32 v[36:37], v[16:17], v[36:37] neg_lo:[0,1] neg_hi:[0,1]
	v_mov_b32_e32 v101, v33
	v_mov_b32_e32 v105, v19
	v_pk_add_f32 v[18:19], v[22:23], v[26:27] op_sel:[0,1] op_sel_hi:[1,0] neg_lo:[0,1] neg_hi:[0,1]
	v_pk_fma_f32 v[26:27], v[16:17], 2.0, v[36:37] op_sel_hi:[1,0,1] neg_lo:[0,0,1] neg_hi:[0,0,1]
	v_pk_fma_f32 v[24:25], v[24:25], 2.0, v[100:101] op_sel_hi:[1,0,1] neg_lo:[0,0,1] neg_hi:[0,0,1]
	v_pk_fma_f32 v[38:39], v[38:39], 2.0, v[104:105] op_sel_hi:[1,0,1] neg_lo:[0,0,1] neg_hi:[0,0,1]
	ds_write_b64 v159, v[26:27]
	ds_write2_b64 v158, v[24:25], v[38:39] offset0:13 offset1:17
	ds_write2_b64 v158, v[100:101], v[104:105] offset0:39 offset1:43
	v_pk_mul_f32 v[24:25], v[30:31], v[4:5] op_sel:[0,1]
	v_mov_b32_e32 v84, v7
	v_pk_fma_f32 v[26:27], v[30:31], v[4:5], v[24:25] op_sel:[0,0,1] op_sel_hi:[1,1,0] neg_lo:[0,0,1] neg_hi:[0,0,1]
	v_pk_fma_f32 v[24:25], v[30:31], v[4:5], v[24:25] op_sel:[0,0,1] op_sel_hi:[1,0,0]
	v_pk_add_f32 v[32:33], v[102:103], v[42:43] neg_lo:[0,1] neg_hi:[0,1]
	v_mov_b32_e32 v27, v25
	v_pk_mul_f32 v[24:25], v[28:29], v[84:85] op_sel_hi:[1,0]
	v_pk_fma_f32 v[42:43], v[102:103], 2.0, v[32:33] op_sel_hi:[1,0,1] neg_lo:[0,0,1] neg_hi:[0,0,1]
	v_pk_fma_f32 v[30:31], v[28:29], v[6:7], v[24:25] op_sel:[0,0,1] op_sel_hi:[1,1,0] neg_lo:[0,0,1] neg_hi:[0,0,1]
	v_pk_fma_f32 v[24:25], v[28:29], v[6:7], v[24:25] op_sel:[0,0,1] op_sel_hi:[1,0,0]
	v_pk_add_f32 v[106:107], v[34:35], v[44:45]
	v_mov_b32_e32 v31, v25
	s_waitcnt vmcnt(0)
	v_pk_mul_f32 v[24:25], v[96:97], v[82:83] op_sel:[0,1]
	v_pk_add_f32 v[40:41], v[34:35], v[44:45] neg_lo:[0,1] neg_hi:[0,1]
	v_pk_fma_f32 v[28:29], v[96:97], v[82:83], v[24:25] op_sel:[0,0,1] op_sel_hi:[1,1,0] neg_lo:[0,0,1] neg_hi:[0,0,1]
	v_pk_fma_f32 v[24:25], v[96:97], v[82:83], v[24:25] op_sel:[0,0,1] op_sel_hi:[1,0,0]
	v_mov_b32_e32 v41, v107
	v_mov_b32_e32 v29, v25
	v_pk_add_f32 v[24:25], v[20:21], v[30:31] neg_lo:[0,1] neg_hi:[0,1]
	v_pk_add_f32 v[28:29], v[26:27], v[28:29] neg_lo:[0,1] neg_hi:[0,1]
	v_pk_fma_f32 v[20:21], v[20:21], 2.0, v[24:25] op_sel_hi:[1,0,1] neg_lo:[0,0,1] neg_hi:[0,0,1]
	v_pk_fma_f32 v[26:27], v[26:27], 2.0, v[28:29] op_sel_hi:[1,0,1] neg_lo:[0,0,1] neg_hi:[0,0,1]
	v_mov_b32_e32 v94, v13
	v_pk_add_f32 v[26:27], v[20:21], v[26:27] neg_lo:[0,1] neg_hi:[0,1]
	v_mov_b32_e32 v92, v9
	v_pk_fma_f32 v[20:21], v[20:21], 2.0, v[26:27] op_sel_hi:[1,0,1] neg_lo:[0,0,1] neg_hi:[0,0,1]
	ds_write2_b64 v158, v[42:43], v[20:21] offset0:4 offset1:8
	v_pk_add_f32 v[20:21], v[24:25], v[28:29] op_sel:[0,1] op_sel_hi:[1,0] neg_lo:[0,1] neg_hi:[0,1]
	v_pk_add_f32 v[28:29], v[24:25], v[28:29] op_sel:[0,1] op_sel_hi:[1,0]
	v_mov_b32_e32 v90, v5
	v_mov_b32_e32 v21, v29
	v_pk_fma_f32 v[16:17], v[34:35], 2.0, v[40:41] op_sel_hi:[1,0,1] neg_lo:[0,0,1] neg_hi:[0,0,1]
	v_pk_fma_f32 v[24:25], v[24:25], 2.0, v[20:21] op_sel_hi:[1,0,1] neg_lo:[0,0,1] neg_hi:[0,0,1]
	ds_write2_b64 v158, v[24:25], v[36:37] offset0:21 offset1:26
	ds_write2_b64 v158, v[32:33], v[26:27] offset0:30 offset1:34
	ds_write_b64 v158, v[20:21] offset:376
	s_and_saveexec_b64 s[2:3], vcc
	s_cbranch_execz .LBB0_5
; %bb.4:
	v_pk_fma_f32 v[20:21], v[22:23], 2.0, v[18:19] op_sel_hi:[1,0,1] neg_lo:[0,0,1] neg_hi:[0,0,1]
	ds_write2_b64 v161, v[20:21], v[16:17] offset0:12 offset1:25
	ds_write2_b64 v161, v[18:19], v[40:41] offset0:38 offset1:51
.LBB0_5:
	s_or_b64 exec, exec, s[2:3]
	s_waitcnt lgkmcnt(0)
	; wave barrier
	s_waitcnt lgkmcnt(0)
	global_load_dwordx2 v[20:21], v[98:99], off offset:416
	s_add_u32 s2, s8, 0x1a0
	s_addc_u32 s3, s9, 0
	global_load_dwordx2 v[42:43], v74, s[2:3] offset:32
	global_load_dwordx2 v[44:45], v74, s[2:3] offset:64
	;; [unrolled: 1-line block ×12, first 2 shown]
	ds_read_b64 v[22:23], v159
	v_add_u32_e32 v162, v161, v74
	s_mov_b32 s8, 0xbeedf032
	s_mov_b32 s2, 0x3f62ad3f
	;; [unrolled: 1-line block ×18, first 2 shown]
	s_waitcnt vmcnt(12) lgkmcnt(0)
	v_mul_f32_e32 v5, v23, v21
	v_mul_f32_e32 v25, v22, v21
	v_fma_f32 v24, v22, v20, -v5
	v_fmac_f32_e32 v25, v23, v20
	ds_write_b64 v159, v[24:25]
	ds_read2_b64 v[20:23], v158 offset0:4 offset1:8
	ds_read2_b64 v[24:27], v158 offset0:16 offset1:20
	;; [unrolled: 1-line block ×5, first 2 shown]
	ds_read_b64 v[74:75], v162 offset:96
	ds_read_b64 v[116:117], v158 offset:384
	s_waitcnt vmcnt(11) lgkmcnt(6)
	v_mul_f32_e32 v5, v21, v43
	v_mul_f32_e32 v119, v20, v43
	s_waitcnt vmcnt(10)
	v_mul_f32_e32 v7, v23, v45
	v_mul_f32_e32 v43, v22, v45
	s_waitcnt vmcnt(9) lgkmcnt(1)
	v_mul_f32_e32 v9, v75, v97
	v_mul_f32_e32 v45, v74, v97
	s_waitcnt vmcnt(8)
	v_mul_f32_e32 v11, v25, v99
	v_mul_f32_e32 v97, v24, v99
	s_waitcnt vmcnt(7)
	;; [unrolled: 3-line block ×8, first 2 shown]
	v_mul_f32_e32 v93, v39, v113
	v_mul_f32_e32 v111, v38, v113
	s_waitcnt vmcnt(0) lgkmcnt(0)
	v_mul_f32_e32 v95, v117, v115
	v_mul_f32_e32 v113, v116, v115
	v_fma_f32 v118, v20, v42, -v5
	v_fmac_f32_e32 v119, v21, v42
	v_fma_f32 v42, v22, v44, -v7
	v_fmac_f32_e32 v43, v23, v44
	;; [unrolled: 2-line block ×12, first 2 shown]
	ds_write2_b64 v158, v[118:119], v[42:43] offset0:4 offset1:8
	ds_write_b64 v162, v[44:45] offset:96
	ds_write2_b64 v158, v[96:97], v[98:99] offset0:16 offset1:20
	ds_write2_b64 v158, v[100:101], v[102:103] offset0:24 offset1:28
	;; [unrolled: 1-line block ×4, first 2 shown]
	ds_write_b64 v158, v[112:113] offset:384
	s_waitcnt lgkmcnt(0)
	; wave barrier
	s_waitcnt lgkmcnt(0)
	ds_read_b64 v[20:21], v159
	ds_read2_b64 v[124:127], v158 offset0:16 offset1:20
	ds_read2_b64 v[36:39], v158 offset0:4 offset1:8
	ds_read_b64 v[44:45], v162 offset:96
	ds_read_b64 v[140:141], v158 offset:384
	ds_read2_b64 v[128:131], v158 offset0:24 offset1:28
	ds_read2_b64 v[132:135], v158 offset0:32 offset1:36
	;; [unrolled: 1-line block ×3, first 2 shown]
	s_waitcnt lgkmcnt(5)
	v_pk_add_f32 v[42:43], v[20:21], v[36:37]
	s_waitcnt lgkmcnt(3)
	v_pk_add_f32 v[98:99], v[36:37], v[140:141] neg_lo:[0,1] neg_hi:[0,1]
	v_pk_add_f32 v[96:97], v[140:141], v[36:37]
	v_pk_mul_f32 v[22:23], v[98:99], s[8:9] op_sel_hi:[1,0]
	s_waitcnt lgkmcnt(0)
	v_pk_add_f32 v[100:101], v[138:139], v[38:39]
	v_pk_fma_f32 v[106:107], v[96:97], s[2:3], v[22:23] op_sel:[0,0,1] op_sel_hi:[1,0,0]
	v_pk_fma_f32 v[108:109], v[96:97], s[2:3], v[22:23] op_sel:[0,0,1] op_sel_hi:[1,0,0] neg_lo:[0,0,1] neg_hi:[0,0,1]
	v_pk_add_f32 v[102:103], v[38:39], v[138:139] neg_lo:[0,1] neg_hi:[0,1]
	v_pk_add_f32 v[118:119], v[126:127], v[132:133] neg_lo:[0,1] neg_hi:[0,1]
	v_mov_b32_e32 v22, v106
	v_mov_b32_e32 v23, v109
	v_pk_add_f32 v[104:105], v[136:137], v[44:45]
	v_pk_add_f32 v[110:111], v[44:45], v[136:137] neg_lo:[0,1] neg_hi:[0,1]
	v_pk_add_f32 v[116:117], v[132:133], v[126:127]
	v_pk_mul_f32 v[34:35], v[118:119], s[14:15] op_sel_hi:[1,0]
	v_mov_b32_e32 v74, v100
	v_mov_b32_e32 v75, v102
	v_pk_add_f32 v[144:145], v[20:21], v[22:23]
	s_mov_b32 s8, 0xbeb58ec6
	v_pk_mul_f32 v[22:23], v[102:103], s[10:11] op_sel_hi:[1,0]
	v_pk_add_f32 v[112:113], v[134:135], v[124:125]
	v_pk_add_f32 v[114:115], v[124:125], v[134:135] neg_lo:[0,1] neg_hi:[0,1]
	v_pk_fma_f32 v[36:37], v[116:117], s[12:13], v[34:35] op_sel:[0,0,1] op_sel_hi:[1,0,0]
	v_pk_fma_f32 v[34:35], v[116:117], s[12:13], v[34:35] op_sel:[0,0,1] op_sel_hi:[1,0,0] neg_lo:[0,0,1] neg_hi:[0,0,1]
	v_pk_mul_f32 v[170:171], v[74:75], s[22:23]
	v_mov_b32_e32 v74, v104
	v_mov_b32_e32 v75, v110
	s_mov_b32 s13, s34
	v_pk_fma_f32 v[26:27], v[100:101], s[8:9], v[22:23] op_sel:[0,0,1] op_sel_hi:[1,0,0]
	v_pk_fma_f32 v[22:23], v[100:101], s[8:9], v[22:23] op_sel:[0,0,1] op_sel_hi:[1,0,0] neg_lo:[0,0,1] neg_hi:[0,0,1]
	v_pk_mul_f32 v[30:31], v[114:115], s[30:31] op_sel_hi:[1,0]
	v_pk_mul_f32 v[176:177], v[74:75], s[12:13]
	v_mov_b32_e32 v74, v112
	v_mov_b32_e32 v75, v114
	s_mov_b32 s9, s10
	s_mov_b32 s22, 0xbf29c268
	v_pk_mul_f32 v[24:25], v[110:111], s[20:21] op_sel_hi:[1,0]
	v_pk_fma_f32 v[32:33], v[112:113], s[16:17], v[30:31] op_sel:[0,0,1] op_sel_hi:[1,0,0]
	v_pk_fma_f32 v[30:31], v[112:113], s[16:17], v[30:31] op_sel:[0,0,1] op_sel_hi:[1,0,0] neg_lo:[0,0,1] neg_hi:[0,0,1]
	v_pk_add_f32 v[120:121], v[130:131], v[128:129]
	v_pk_add_f32 v[122:123], v[128:129], v[130:131] neg_lo:[0,1] neg_hi:[0,1]
	v_pk_mul_f32 v[182:183], v[74:75], s[8:9]
	v_mov_b32_e32 v74, v116
	v_mov_b32_e32 v75, v118
	s_mov_b32 s17, s22
	v_pk_fma_f32 v[28:29], v[104:105], s[18:19], v[24:25] op_sel:[0,0,1] op_sel_hi:[1,0,0]
	v_pk_fma_f32 v[24:25], v[104:105], s[18:19], v[24:25] op_sel:[0,0,1] op_sel_hi:[1,0,0] neg_lo:[0,0,1] neg_hi:[0,0,1]
	v_pk_mul_f32 v[188:189], v[74:75], s[16:17]
	v_mov_b32_e32 v74, v120
	v_mov_b32_e32 v75, v122
	s_mov_b32 s19, s20
	v_pk_mul_f32 v[194:195], v[74:75], s[18:19]
	v_pk_add_f32 v[74:75], v[42:43], v[38:39]
	v_mov_b32_e32 v168, v103
	v_pk_add_f32 v[44:45], v[74:75], v[44:45]
	v_mov_b32_e32 v169, v101
	v_pk_add_f32 v[44:45], v[44:45], v[124:125]
	v_pk_fma_f32 v[142:143], v[168:169], s[24:25], v[170:171] neg_lo:[1,0,0] neg_hi:[1,0,0]
	v_pk_add_f32 v[124:125], v[44:45], v[126:127]
	v_pk_fma_f32 v[172:173], v[168:169], s[24:25], v[170:171]
	v_mov_b32_e32 v174, v111
	v_mov_b32_e32 v175, v105
	v_pk_mul_f32 v[74:75], v[98:99], s[24:25] op_sel_hi:[1,0]
	v_pk_add_f32 v[124:125], v[124:125], v[128:129]
	v_pk_fma_f32 v[128:129], v[168:169], s[24:25], v[170:171] neg_lo:[0,0,1] neg_hi:[0,0,1]
	v_mov_b32_e32 v143, v173
	v_pk_fma_f32 v[150:151], v[174:175], s[34:35], v[176:177] neg_lo:[1,0,0] neg_hi:[1,0,0]
	v_pk_fma_f32 v[178:179], v[174:175], s[34:35], v[176:177]
	v_mov_b32_e32 v180, v115
	v_mov_b32_e32 v181, v113
	s_mov_b32 s11, s8
	v_pk_fma_f32 v[44:45], v[96:97], s[28:29], v[74:75] op_sel:[0,0,1] op_sel_hi:[1,0,0]
	v_pk_fma_f32 v[74:75], v[96:97], s[28:29], v[74:75] op_sel:[0,0,1] op_sel_hi:[1,0,0] neg_lo:[0,0,1] neg_hi:[0,0,1]
	v_pk_add_f32 v[124:125], v[124:125], v[130:131]
	v_mov_b32_e32 v173, v129
	v_pk_fma_f32 v[130:131], v[174:175], s[34:35], v[176:177] neg_lo:[0,0,1] neg_hi:[0,0,1]
	v_mov_b32_e32 v151, v179
	v_pk_fma_f32 v[152:153], v[180:181], s[10:11], v[182:183] neg_lo:[1,0,0] neg_hi:[1,0,0]
	v_pk_fma_f32 v[184:185], v[180:181], s[10:11], v[182:183]
	v_mov_b32_e32 v186, v119
	v_mov_b32_e32 v187, v117
	s_mov_b32 s23, s16
	v_mov_b32_e32 v126, v44
	v_mov_b32_e32 v127, v75
	v_pk_add_f32 v[124:125], v[124:125], v[132:133]
	v_pk_add_f32 v[128:129], v[172:173], v[144:145]
	v_mov_b32_e32 v179, v131
	v_pk_fma_f32 v[130:131], v[180:181], s[10:11], v[182:183] neg_lo:[0,0,1] neg_hi:[0,0,1]
	v_mov_b32_e32 v146, v26
	v_mov_b32_e32 v147, v23
	;; [unrolled: 1-line block ×3, first 2 shown]
	v_pk_fma_f32 v[154:155], v[186:187], s[22:23], v[188:189] neg_lo:[1,0,0] neg_hi:[1,0,0]
	v_pk_fma_f32 v[190:191], v[186:187], s[22:23], v[188:189]
	v_mov_b32_e32 v192, v123
	v_mov_b32_e32 v193, v121
	s_mov_b32 s21, s18
	v_pk_add_f32 v[124:125], v[124:125], v[134:135]
	v_pk_add_f32 v[126:127], v[20:21], v[126:127]
	v_pk_add_f32 v[128:129], v[178:179], v[128:129]
	v_mov_b32_e32 v185, v131
	v_pk_fma_f32 v[130:131], v[186:187], s[22:23], v[188:189] neg_lo:[0,0,1] neg_hi:[0,0,1]
	v_mov_b32_e32 v148, v28
	v_mov_b32_e32 v149, v25
	v_mov_b32_e32 v155, v191
	v_pk_fma_f32 v[156:157], v[192:193], s[20:21], v[194:195] neg_lo:[1,0,0] neg_hi:[1,0,0]
	v_pk_fma_f32 v[196:197], v[192:193], s[20:21], v[194:195]
	v_pk_add_f32 v[124:125], v[124:125], v[136:137]
	v_pk_add_f32 v[126:127], v[146:147], v[126:127]
	;; [unrolled: 1-line block ×3, first 2 shown]
	v_mov_b32_e32 v191, v131
	v_pk_fma_f32 v[130:131], v[192:193], s[20:21], v[194:195] neg_lo:[0,0,1] neg_hi:[0,0,1]
	v_mov_b32_e32 v164, v32
	v_mov_b32_e32 v165, v31
	v_mov_b32_e32 v157, v197
	v_pk_mul_f32 v[38:39], v[122:123], s[26:27] op_sel_hi:[1,0]
	v_pk_add_f32 v[124:125], v[124:125], v[138:139]
	v_pk_add_f32 v[126:127], v[148:149], v[126:127]
	;; [unrolled: 1-line block ×3, first 2 shown]
	v_mov_b32_e32 v197, v131
	v_mov_b32_e32 v166, v36
	;; [unrolled: 1-line block ×3, first 2 shown]
	v_pk_fma_f32 v[42:43], v[120:121], s[2:3], v[38:39] op_sel:[0,0,1] op_sel_hi:[1,0,0]
	v_pk_fma_f32 v[38:39], v[120:121], s[2:3], v[38:39] op_sel:[0,0,1] op_sel_hi:[1,0,0] neg_lo:[0,0,1] neg_hi:[0,0,1]
	v_pk_add_f32 v[124:125], v[124:125], v[140:141]
	v_pk_add_f32 v[126:127], v[164:165], v[126:127]
	;; [unrolled: 1-line block ×3, first 2 shown]
	v_mov_b32_e32 v198, v42
	v_mov_b32_e32 v199, v39
	v_pk_add_f32 v[126:127], v[166:167], v[126:127]
	s_waitcnt lgkmcnt(0)
	; wave barrier
	ds_write2_b64 v160, v[124:125], v[128:129] offset1:1
	v_pk_mul_f32 v[124:125], v[98:99], s[34:35] op_sel_hi:[1,0]
	v_pk_add_f32 v[164:165], v[198:199], v[126:127]
	v_pk_fma_f32 v[126:127], v[96:97], s[12:13], v[124:125] op_sel:[0,0,1] op_sel_hi:[1,0,0]
	v_pk_fma_f32 v[128:129], v[96:97], s[12:13], v[124:125] op_sel:[0,0,1] op_sel_hi:[1,0,0] neg_lo:[0,0,1] neg_hi:[0,0,1]
	v_mov_b32_e32 v124, v126
	v_mov_b32_e32 v125, v129
	v_pk_add_f32 v[166:167], v[20:21], v[124:125]
	v_pk_mul_f32 v[124:125], v[102:103], s[20:21] op_sel_hi:[1,0]
	v_pk_mul_f32 v[130:131], v[110:111], s[36:37] op_sel_hi:[1,0]
	v_pk_fma_f32 v[132:133], v[100:101], s[18:19], v[124:125] op_sel:[0,0,1] op_sel_hi:[1,0,0]
	v_pk_fma_f32 v[124:125], v[100:101], s[18:19], v[124:125] op_sel:[0,0,1] op_sel_hi:[1,0,0] neg_lo:[0,0,1] neg_hi:[0,0,1]
	v_mov_b32_e32 v168, v132
	v_mov_b32_e32 v169, v125
	v_pk_fma_f32 v[136:137], v[104:105], s[8:9], v[130:131] op_sel:[0,0,1] op_sel_hi:[1,0,0]
	v_pk_fma_f32 v[130:131], v[104:105], s[8:9], v[130:131] op_sel:[0,0,1] op_sel_hi:[1,0,0] neg_lo:[0,0,1] neg_hi:[0,0,1]
	v_pk_mul_f32 v[134:135], v[114:115], s[26:27] op_sel_hi:[1,0]
	v_mov_b32_e32 v170, v136
	v_mov_b32_e32 v171, v131
	v_pk_fma_f32 v[140:141], v[112:113], s[2:3], v[134:135] op_sel:[0,0,1] op_sel_hi:[1,0,0]
	v_pk_fma_f32 v[134:135], v[112:113], s[2:3], v[134:135] op_sel:[0,0,1] op_sel_hi:[1,0,0] neg_lo:[0,0,1] neg_hi:[0,0,1]
	v_pk_mul_f32 v[138:139], v[118:119], s[24:25] op_sel_hi:[1,0]
	v_pk_add_f32 v[166:167], v[168:169], v[166:167]
	v_mov_b32_e32 v172, v140
	v_mov_b32_e32 v173, v135
	v_pk_fma_f32 v[144:145], v[116:117], s[28:29], v[138:139] op_sel:[0,0,1] op_sel_hi:[1,0,0]
	v_pk_fma_f32 v[138:139], v[116:117], s[28:29], v[138:139] op_sel:[0,0,1] op_sel_hi:[1,0,0] neg_lo:[0,0,1] neg_hi:[0,0,1]
	v_pk_mul_f32 v[146:147], v[122:123], s[22:23] op_sel_hi:[1,0]
	v_pk_add_f32 v[166:167], v[170:171], v[166:167]
	v_mov_b32_e32 v174, v144
	v_mov_b32_e32 v175, v139
	v_pk_fma_f32 v[148:149], v[120:121], s[16:17], v[146:147] op_sel:[0,0,1] op_sel_hi:[1,0,0]
	v_pk_fma_f32 v[146:147], v[120:121], s[16:17], v[146:147] op_sel:[0,0,1] op_sel_hi:[1,0,0] neg_lo:[0,0,1] neg_hi:[0,0,1]
	v_pk_add_f32 v[166:167], v[172:173], v[166:167]
	v_mov_b32_e32 v176, v148
	v_mov_b32_e32 v177, v147
	v_pk_add_f32 v[166:167], v[174:175], v[166:167]
	v_pk_mul_f32 v[170:171], v[102:103], s[30:31] op_sel_hi:[1,0]
	v_pk_add_f32 v[166:167], v[176:177], v[166:167]
	ds_write2_b64 v160, v[164:165], v[166:167] offset0:2 offset1:3
	v_pk_mul_f32 v[164:165], v[98:99], s[10:11] op_sel_hi:[1,0]
	v_pk_fma_f32 v[172:173], v[100:101], s[16:17], v[170:171] op_sel:[0,0,1] op_sel_hi:[1,0,0]
	v_pk_fma_f32 v[166:167], v[96:97], s[8:9], v[164:165] op_sel:[0,0,1] op_sel_hi:[1,0,0]
	v_pk_fma_f32 v[164:165], v[96:97], s[8:9], v[164:165] op_sel:[0,0,1] op_sel_hi:[1,0,0] neg_lo:[0,0,1] neg_hi:[0,0,1]
	v_mov_b32_e32 v168, v166
	v_mov_b32_e32 v169, v165
	v_pk_fma_f32 v[170:171], v[100:101], s[16:17], v[170:171] op_sel:[0,0,1] op_sel_hi:[1,0,0] neg_lo:[0,0,1] neg_hi:[0,0,1]
	v_pk_mul_f32 v[176:177], v[110:111], s[26:27] op_sel_hi:[1,0]
	v_pk_add_f32 v[168:169], v[20:21], v[168:169]
	v_mov_b32_e32 v174, v172
	v_mov_b32_e32 v175, v171
	v_pk_fma_f32 v[178:179], v[104:105], s[2:3], v[176:177] op_sel:[0,0,1] op_sel_hi:[1,0,0]
	v_pk_fma_f32 v[176:177], v[104:105], s[2:3], v[176:177] op_sel:[0,0,1] op_sel_hi:[1,0,0] neg_lo:[0,0,1] neg_hi:[0,0,1]
	v_pk_mul_f32 v[182:183], v[114:115], s[34:35] op_sel_hi:[1,0]
	s_mov_b32 s34, 0x3e750f2a
	v_mov_b32_e32 v180, v178
	v_mov_b32_e32 v181, v177
	v_pk_fma_f32 v[184:185], v[112:113], s[12:13], v[182:183] op_sel:[0,0,1] op_sel_hi:[1,0,0]
	v_pk_fma_f32 v[182:183], v[112:113], s[12:13], v[182:183] op_sel:[0,0,1] op_sel_hi:[1,0,0] neg_lo:[0,0,1] neg_hi:[0,0,1]
	v_pk_mul_f32 v[188:189], v[118:119], s[34:35] op_sel_hi:[1,0]
	s_mov_b32 s30, 0x3f52af12
	v_pk_add_f32 v[168:169], v[174:175], v[168:169]
	v_mov_b32_e32 v186, v184
	v_mov_b32_e32 v187, v183
	v_pk_fma_f32 v[190:191], v[116:117], s[18:19], v[188:189] op_sel:[0,0,1] op_sel_hi:[1,0,0]
	v_pk_fma_f32 v[188:189], v[116:117], s[18:19], v[188:189] op_sel:[0,0,1] op_sel_hi:[1,0,0] neg_lo:[0,0,1] neg_hi:[0,0,1]
	v_pk_mul_f32 v[194:195], v[122:123], s[30:31] op_sel_hi:[1,0]
	v_pk_add_f32 v[168:169], v[180:181], v[168:169]
	v_mov_b32_e32 v192, v190
	v_mov_b32_e32 v193, v189
	v_pk_fma_f32 v[196:197], v[120:121], s[28:29], v[194:195] op_sel:[0,0,1] op_sel_hi:[1,0,0]
	v_pk_fma_f32 v[194:195], v[120:121], s[28:29], v[194:195] op_sel:[0,0,1] op_sel_hi:[1,0,0] neg_lo:[0,0,1] neg_hi:[0,0,1]
	v_pk_add_f32 v[168:169], v[186:187], v[168:169]
	v_mov_b32_e32 v174, v196
	v_mov_b32_e32 v175, v195
	v_pk_add_f32 v[168:169], v[192:193], v[168:169]
	v_pk_mul_f32 v[192:193], v[102:103], s[14:15] op_sel_hi:[1,0]
	v_pk_add_f32 v[168:169], v[174:175], v[168:169]
	v_pk_mul_f32 v[174:175], v[98:99], s[22:23] op_sel_hi:[1,0]
	v_pk_fma_f32 v[198:199], v[100:101], s[12:13], v[192:193] op_sel:[0,0,1] op_sel_hi:[1,0,0]
	v_pk_fma_f32 v[180:181], v[96:97], s[16:17], v[174:175] op_sel:[0,0,1] op_sel_hi:[1,0,0]
	v_pk_fma_f32 v[174:175], v[96:97], s[16:17], v[174:175] op_sel:[0,0,1] op_sel_hi:[1,0,0] neg_lo:[0,0,1] neg_hi:[0,0,1]
	v_mov_b32_e32 v186, v180
	v_mov_b32_e32 v187, v175
	v_pk_fma_f32 v[192:193], v[100:101], s[12:13], v[192:193] op_sel:[0,0,1] op_sel_hi:[1,0,0] neg_lo:[0,0,1] neg_hi:[0,0,1]
	v_pk_add_f32 v[186:187], v[20:21], v[186:187]
	v_mov_b32_e32 v200, v198
	v_mov_b32_e32 v201, v193
	v_pk_add_f32 v[186:187], v[200:201], v[186:187]
	v_pk_mul_f32 v[200:201], v[110:111], s[24:25] op_sel_hi:[1,0]
	v_mov_b32_e32 v109, v107
	v_pk_fma_f32 v[202:203], v[104:105], s[28:29], v[200:201] op_sel:[0,0,1] op_sel_hi:[1,0,0]
	v_pk_fma_f32 v[200:201], v[104:105], s[28:29], v[200:201] op_sel:[0,0,1] op_sel_hi:[1,0,0] neg_lo:[0,0,1] neg_hi:[0,0,1]
	v_mov_b32_e32 v204, v202
	v_mov_b32_e32 v205, v201
	v_pk_add_f32 v[186:187], v[204:205], v[186:187]
	v_pk_mul_f32 v[204:205], v[114:115], s[34:35] op_sel_hi:[1,0]
	v_pk_add_f32 v[106:107], v[20:21], v[108:109]
	v_pk_fma_f32 v[206:207], v[112:113], s[18:19], v[204:205] op_sel:[0,0,1] op_sel_hi:[1,0,0]
	v_pk_fma_f32 v[204:205], v[112:113], s[18:19], v[204:205] op_sel:[0,0,1] op_sel_hi:[1,0,0] neg_lo:[0,0,1] neg_hi:[0,0,1]
	v_pk_mul_f32 v[98:99], v[98:99], s[20:21] op_sel_hi:[1,0]
	v_mov_b32_e32 v208, v206
	v_mov_b32_e32 v209, v205
	v_pk_add_f32 v[106:107], v[142:143], v[106:107]
	v_pk_fma_f32 v[108:109], v[96:97], s[18:19], v[98:99] op_sel:[0,0,1] op_sel_hi:[1,0,0]
	v_pk_fma_f32 v[142:143], v[96:97], s[18:19], v[98:99] op_sel:[0,0,1] op_sel_hi:[1,0,0] neg_lo:[0,0,1] neg_hi:[0,0,1]
	v_pk_mul_f32 v[96:97], v[102:103], s[26:27] op_sel_hi:[1,0]
	v_pk_add_f32 v[186:187], v[208:209], v[186:187]
	v_pk_mul_f32 v[208:209], v[118:119], s[26:27] op_sel_hi:[1,0]
	v_pk_fma_f32 v[98:99], v[100:101], s[2:3], v[96:97] op_sel:[0,0,1] op_sel_hi:[1,0,0]
	v_pk_fma_f32 v[100:101], v[100:101], s[2:3], v[96:97] op_sel:[0,0,1] op_sel_hi:[1,0,0] neg_lo:[0,0,1] neg_hi:[0,0,1]
	v_pk_mul_f32 v[96:97], v[110:111], s[22:23] op_sel_hi:[1,0]
	v_pk_fma_f32 v[210:211], v[116:117], s[2:3], v[208:209] op_sel:[0,0,1] op_sel_hi:[1,0,0]
	v_pk_fma_f32 v[208:209], v[116:117], s[2:3], v[208:209] op_sel:[0,0,1] op_sel_hi:[1,0,0] neg_lo:[0,0,1] neg_hi:[0,0,1]
	v_pk_fma_f32 v[102:103], v[104:105], s[16:17], v[96:97] op_sel:[0,0,1] op_sel_hi:[1,0,0]
	v_pk_fma_f32 v[104:105], v[104:105], s[16:17], v[96:97] op_sel:[0,0,1] op_sel_hi:[1,0,0] neg_lo:[0,0,1] neg_hi:[0,0,1]
	v_pk_mul_f32 v[96:97], v[114:115], s[30:31] op_sel_hi:[1,0]
	v_mov_b32_e32 v212, v210
	v_mov_b32_e32 v213, v209
	v_pk_fma_f32 v[110:111], v[112:113], s[28:29], v[96:97] op_sel:[0,0,1] op_sel_hi:[1,0,0]
	v_pk_fma_f32 v[112:113], v[112:113], s[28:29], v[96:97] op_sel:[0,0,1] op_sel_hi:[1,0,0] neg_lo:[0,0,1] neg_hi:[0,0,1]
	v_pk_mul_f32 v[96:97], v[118:119], s[10:11] op_sel_hi:[1,0]
	v_pk_add_f32 v[186:187], v[212:213], v[186:187]
	v_pk_mul_f32 v[212:213], v[122:123], s[10:11] op_sel_hi:[1,0]
	v_pk_fma_f32 v[114:115], v[116:117], s[8:9], v[96:97] op_sel:[0,0,1] op_sel_hi:[1,0,0]
	v_pk_fma_f32 v[116:117], v[116:117], s[8:9], v[96:97] op_sel:[0,0,1] op_sel_hi:[1,0,0] neg_lo:[0,0,1] neg_hi:[0,0,1]
	v_pk_mul_f32 v[96:97], v[122:123], s[14:15] op_sel_hi:[1,0]
	v_pk_fma_f32 v[214:215], v[120:121], s[8:9], v[212:213] op_sel:[0,0,1] op_sel_hi:[1,0,0]
	v_pk_fma_f32 v[212:213], v[120:121], s[8:9], v[212:213] op_sel:[0,0,1] op_sel_hi:[1,0,0] neg_lo:[0,0,1] neg_hi:[0,0,1]
	v_pk_fma_f32 v[118:119], v[120:121], s[12:13], v[96:97] op_sel:[0,0,1] op_sel_hi:[1,0,0]
	v_pk_fma_f32 v[120:121], v[120:121], s[12:13], v[96:97] op_sel:[0,0,1] op_sel_hi:[1,0,0] neg_lo:[0,0,1] neg_hi:[0,0,1]
	v_mov_b32_e32 v96, v108
	v_mov_b32_e32 v97, v143
	v_pk_add_f32 v[96:97], v[20:21], v[96:97]
	v_mov_b32_e32 v122, v98
	v_mov_b32_e32 v123, v101
	;; [unrolled: 1-line block ×3, first 2 shown]
	v_pk_add_f32 v[96:97], v[122:123], v[96:97]
	v_mov_b32_e32 v122, v102
	v_mov_b32_e32 v123, v105
	;; [unrolled: 1-line block ×4, first 2 shown]
	v_pk_add_f32 v[102:103], v[20:21], v[142:143]
	v_pk_add_f32 v[96:97], v[122:123], v[96:97]
	;; [unrolled: 1-line block ×3, first 2 shown]
	v_mov_b32_e32 v122, v110
	v_mov_b32_e32 v123, v113
	v_mov_b32_e32 v113, v111
	v_pk_add_f32 v[100:101], v[104:105], v[100:101]
	v_pk_add_f32 v[96:97], v[122:123], v[96:97]
	v_mov_b32_e32 v122, v114
	v_mov_b32_e32 v123, v117
	v_mov_b32_e32 v117, v115
	v_pk_add_f32 v[100:101], v[112:113], v[100:101]
	v_pk_add_f32 v[96:97], v[122:123], v[96:97]
	;; [unrolled: 5-line block ×3, first 2 shown]
	v_pk_add_f32 v[100:101], v[120:121], v[100:101]
	v_mov_b32_e32 v175, v181
	v_mov_b32_e32 v165, v167
	ds_write2_b64 v160, v[122:123], v[100:101] offset0:6 offset1:7
	v_pk_add_f32 v[100:101], v[20:21], v[174:175]
	v_mov_b32_e32 v193, v199
	v_pk_add_f32 v[102:103], v[20:21], v[164:165]
	v_mov_b32_e32 v171, v173
	v_mov_b32_e32 v201, v203
	v_pk_add_f32 v[100:101], v[192:193], v[100:101]
	v_mov_b32_e32 v177, v179
	v_pk_add_f32 v[102:103], v[170:171], v[102:103]
	;; [unrolled: 2-line block ×6, first 2 shown]
	v_mov_b32_e32 v217, v213
	v_mov_b32_e32 v213, v215
	v_pk_add_f32 v[100:101], v[208:209], v[100:101]
	v_mov_b32_e32 v195, v197
	v_pk_add_f32 v[102:103], v[188:189], v[102:103]
	v_pk_add_f32 v[100:101], v[212:213], v[100:101]
	;; [unrolled: 1-line block ×3, first 2 shown]
	v_mov_b32_e32 v129, v127
	v_mov_b32_e32 v75, v45
	ds_write2_b64 v160, v[100:101], v[102:103] offset0:8 offset1:9
	v_pk_add_f32 v[100:101], v[20:21], v[128:129]
	v_mov_b32_e32 v125, v133
	v_mov_b32_e32 v23, v27
	v_pk_add_f32 v[20:21], v[20:21], v[74:75]
	v_mov_b32_e32 v131, v137
	v_pk_add_f32 v[100:101], v[124:125], v[100:101]
	;; [unrolled: 2-line block ×5, first 2 shown]
	v_pk_add_f32 v[106:107], v[150:151], v[106:107]
	v_mov_b32_e32 v139, v145
	v_pk_add_f32 v[100:101], v[134:135], v[100:101]
	v_mov_b32_e32 v35, v37
	;; [unrolled: 2-line block ×5, first 2 shown]
	v_pk_add_f32 v[20:21], v[34:35], v[20:21]
	v_pk_add_f32 v[186:187], v[216:217], v[186:187]
	;; [unrolled: 1-line block ×5, first 2 shown]
	ds_write2_b64 v160, v[168:169], v[186:187] offset0:4 offset1:5
	v_pk_add_f32 v[106:107], v[156:157], v[106:107]
	ds_write2_b64 v160, v[100:101], v[20:21] offset0:10 offset1:11
	ds_write_b64 v160, v[106:107] offset:96
	s_waitcnt lgkmcnt(0)
	; wave barrier
	s_waitcnt lgkmcnt(0)
	ds_read2_b64 v[36:39], v158 offset0:13 offset1:17
	ds_read2_b64 v[28:31], v158 offset0:21 offset1:26
	;; [unrolled: 1-line block ×5, first 2 shown]
	ds_read_b64 v[74:75], v159
	ds_read_b64 v[42:43], v158 offset:376
	v_mov_b32_e32 v13, v12
	v_mov_b32_e32 v95, v94
	;; [unrolled: 1-line block ×21, first 2 shown]
	s_and_saveexec_b64 s[2:3], vcc
	s_cbranch_execz .LBB0_7
; %bb.6:
	ds_read2_b64 v[16:19], v161 offset0:25 offset1:38
	ds_read_b64 v[106:107], v162 offset:96
	ds_read_b64 v[40:41], v161 offset:408
.LBB0_7:
	s_or_b64 exec, exec, s[2:3]
	s_waitcnt lgkmcnt(6)
	v_pk_mul_f32 v[94:95], v[94:95], v[36:37]
	s_waitcnt lgkmcnt(5)
	v_pk_mul_f32 v[88:89], v[88:89], v[30:31]
	v_pk_fma_f32 v[100:101], v[12:13], v[36:37], v[94:95] op_sel:[0,0,1] op_sel_hi:[1,1,0]
	v_pk_fma_f32 v[12:13], v[12:13], v[36:37], v[94:95] op_sel:[0,0,1] op_sel_hi:[1,1,0] neg_lo:[0,0,1] neg_hi:[0,0,1]
	s_waitcnt lgkmcnt(4)
	v_pk_mul_f32 v[80:81], v[80:81], v[32:33]
	v_mov_b32_e32 v101, v13
	v_pk_fma_f32 v[12:13], v[14:15], v[30:31], v[88:89] op_sel:[0,0,1] op_sel_hi:[1,1,0]
	v_pk_fma_f32 v[14:15], v[14:15], v[30:31], v[88:89] op_sel:[0,0,1] op_sel_hi:[1,1,0] neg_lo:[0,0,1] neg_hi:[0,0,1]
	v_pk_fma_f32 v[30:31], v[98:99], v[32:33], v[80:81] op_sel:[0,0,1] op_sel_hi:[1,1,0] neg_lo:[0,0,1] neg_hi:[0,0,1]
	v_mov_b32_e32 v13, v15
	v_pk_fma_f32 v[14:15], v[98:99], v[32:33], v[80:81] op_sel:[0,0,1] op_sel_hi:[1,1,0]
	s_waitcnt lgkmcnt(1)
	v_pk_add_f32 v[12:13], v[74:75], v[12:13] neg_lo:[0,1] neg_hi:[0,1]
	v_mov_b32_e32 v15, v31
	v_pk_add_f32 v[14:15], v[100:101], v[14:15] neg_lo:[0,1] neg_hi:[0,1]
	v_pk_fma_f32 v[30:31], v[74:75], 2.0, v[12:13] op_sel_hi:[1,0,1] neg_lo:[0,0,1] neg_hi:[0,0,1]
	v_pk_fma_f32 v[32:33], v[100:101], 2.0, v[14:15] op_sel_hi:[1,0,1] neg_lo:[0,0,1] neg_hi:[0,0,1]
	v_pk_mul_f32 v[92:93], v[92:93], v[38:39]
	v_pk_add_f32 v[32:33], v[30:31], v[32:33] neg_lo:[0,1] neg_hi:[0,1]
	v_pk_mul_f32 v[86:87], v[86:87], v[24:25]
	v_pk_fma_f32 v[30:31], v[30:31], 2.0, v[32:33] op_sel_hi:[1,0,1] neg_lo:[0,0,1] neg_hi:[0,0,1]
	ds_write_b64 v159, v[30:31]
	v_pk_add_f32 v[30:31], v[12:13], v[14:15] op_sel:[0,1] op_sel_hi:[1,0]
	v_pk_add_f32 v[14:15], v[12:13], v[14:15] op_sel:[0,1] op_sel_hi:[1,0] neg_lo:[0,1] neg_hi:[0,1]
	v_pk_mul_f32 v[78:79], v[78:79], v[34:35]
	v_mov_b32_e32 v31, v15
	v_pk_fma_f32 v[14:15], v[8:9], v[38:39], v[92:93] op_sel:[0,0,1] op_sel_hi:[1,1,0]
	v_pk_fma_f32 v[8:9], v[8:9], v[38:39], v[92:93] op_sel:[0,0,1] op_sel_hi:[1,1,0] neg_lo:[0,0,1] neg_hi:[0,0,1]
	v_pk_mul_f32 v[90:91], v[90:91], v[28:29]
	v_mov_b32_e32 v15, v9
	v_pk_fma_f32 v[8:9], v[10:11], v[24:25], v[86:87] op_sel:[0,0,1] op_sel_hi:[1,1,0]
	v_pk_fma_f32 v[10:11], v[10:11], v[24:25], v[86:87] op_sel:[0,0,1] op_sel_hi:[1,1,0] neg_lo:[0,0,1] neg_hi:[0,0,1]
	v_pk_fma_f32 v[24:25], v[96:97], v[34:35], v[78:79] op_sel:[0,0,1] op_sel_hi:[1,1,0] neg_lo:[0,0,1] neg_hi:[0,0,1]
	v_mov_b32_e32 v9, v11
	v_pk_fma_f32 v[10:11], v[96:97], v[34:35], v[78:79] op_sel:[0,0,1] op_sel_hi:[1,1,0]
	v_pk_add_f32 v[8:9], v[20:21], v[8:9] neg_lo:[0,1] neg_hi:[0,1]
	v_mov_b32_e32 v11, v25
	v_pk_add_f32 v[10:11], v[14:15], v[10:11] neg_lo:[0,1] neg_hi:[0,1]
	v_pk_fma_f32 v[12:13], v[12:13], 2.0, v[30:31] op_sel_hi:[1,0,1] neg_lo:[0,0,1] neg_hi:[0,0,1]
	v_pk_fma_f32 v[14:15], v[14:15], 2.0, v[10:11] op_sel_hi:[1,0,1] neg_lo:[0,0,1] neg_hi:[0,0,1]
	v_pk_add_f32 v[24:25], v[8:9], v[10:11] op_sel:[0,1] op_sel_hi:[1,0]
	v_pk_add_f32 v[10:11], v[8:9], v[10:11] op_sel:[0,1] op_sel_hi:[1,0] neg_lo:[0,1] neg_hi:[0,1]
	v_pk_fma_f32 v[20:21], v[20:21], 2.0, v[8:9] op_sel_hi:[1,0,1] neg_lo:[0,0,1] neg_hi:[0,0,1]
	v_mov_b32_e32 v25, v11
	v_pk_fma_f32 v[8:9], v[8:9], 2.0, v[24:25] op_sel_hi:[1,0,1] neg_lo:[0,0,1] neg_hi:[0,0,1]
	v_pk_mul_f32 v[84:85], v[84:85], v[26:27]
	ds_write2_b64 v158, v[12:13], v[8:9] offset0:13 offset1:17
	ds_write2_b64 v158, v[30:31], v[24:25] offset0:39 offset1:43
	v_pk_fma_f32 v[8:9], v[4:5], v[28:29], v[90:91] op_sel:[0,0,1] op_sel_hi:[1,1,0]
	v_pk_fma_f32 v[4:5], v[4:5], v[28:29], v[90:91] op_sel:[0,0,1] op_sel_hi:[1,1,0] neg_lo:[0,0,1] neg_hi:[0,0,1]
	s_waitcnt lgkmcnt(3)
	v_pk_mul_f32 v[82:83], v[82:83], v[42:43]
	v_mov_b32_e32 v9, v5
	v_pk_fma_f32 v[4:5], v[6:7], v[26:27], v[84:85] op_sel:[0,0,1] op_sel_hi:[1,1,0]
	v_pk_fma_f32 v[6:7], v[6:7], v[26:27], v[84:85] op_sel:[0,0,1] op_sel_hi:[1,1,0] neg_lo:[0,0,1] neg_hi:[0,0,1]
	v_pk_fma_f32 v[10:11], v[44:45], v[42:43], v[82:83] op_sel:[0,0,1] op_sel_hi:[1,1,0] neg_lo:[0,0,1] neg_hi:[0,0,1]
	v_mov_b32_e32 v5, v7
	v_pk_fma_f32 v[6:7], v[44:45], v[42:43], v[82:83] op_sel:[0,0,1] op_sel_hi:[1,1,0]
	v_pk_add_f32 v[4:5], v[22:23], v[4:5] neg_lo:[0,1] neg_hi:[0,1]
	v_mov_b32_e32 v7, v11
	v_pk_add_f32 v[6:7], v[8:9], v[6:7] neg_lo:[0,1] neg_hi:[0,1]
	v_pk_fma_f32 v[10:11], v[22:23], 2.0, v[4:5] op_sel_hi:[1,0,1] neg_lo:[0,0,1] neg_hi:[0,0,1]
	v_pk_fma_f32 v[8:9], v[8:9], 2.0, v[6:7] op_sel_hi:[1,0,1] neg_lo:[0,0,1] neg_hi:[0,0,1]
	v_pk_add_f32 v[14:15], v[20:21], v[14:15] neg_lo:[0,1] neg_hi:[0,1]
	v_pk_add_f32 v[8:9], v[10:11], v[8:9] neg_lo:[0,1] neg_hi:[0,1]
	v_pk_fma_f32 v[20:21], v[20:21], 2.0, v[14:15] op_sel_hi:[1,0,1] neg_lo:[0,0,1] neg_hi:[0,0,1]
	v_pk_fma_f32 v[10:11], v[10:11], 2.0, v[8:9] op_sel_hi:[1,0,1] neg_lo:[0,0,1] neg_hi:[0,0,1]
	ds_write2_b64 v158, v[20:21], v[10:11] offset0:4 offset1:8
	v_pk_add_f32 v[10:11], v[4:5], v[6:7] op_sel:[0,1] op_sel_hi:[1,0]
	v_pk_add_f32 v[6:7], v[4:5], v[6:7] op_sel:[0,1] op_sel_hi:[1,0] neg_lo:[0,1] neg_hi:[0,1]
	s_nop 0
	v_mov_b32_e32 v11, v7
	v_pk_fma_f32 v[4:5], v[4:5], 2.0, v[10:11] op_sel_hi:[1,0,1] neg_lo:[0,0,1] neg_hi:[0,0,1]
	ds_write2_b64 v158, v[4:5], v[32:33] offset0:21 offset1:26
	ds_write2_b64 v158, v[14:15], v[8:9] offset0:30 offset1:34
	ds_write_b64 v158, v[10:11] offset:376
	s_and_saveexec_b64 s[2:3], vcc
	s_cbranch_execz .LBB0_9
; %bb.8:
	v_pk_mul_f32 v[4:5], v[2:3], v[18:19] op_sel:[0,1]
	v_pk_mul_f32 v[6:7], v[0:1], v[16:17] op_sel_hi:[1,0]
	v_pk_mul_f32 v[8:9], v[76:77], v[40:41] op_sel_hi:[1,0]
	v_mov_b32_e32 v10, v41
	v_pk_fma_f32 v[12:13], v[2:3], v[18:19], v[4:5] op_sel:[0,0,1] op_sel_hi:[1,1,0]
	v_pk_fma_f32 v[2:3], v[2:3], v[18:19], v[4:5] op_sel:[0,0,1] op_sel_hi:[1,0,0] neg_lo:[1,0,0] neg_hi:[1,0,0]
	v_pk_fma_f32 v[4:5], v[0:1], v[16:17], v[6:7] op_sel:[0,1,1] op_sel_hi:[1,1,0] neg_lo:[0,0,1] neg_hi:[0,0,1]
	v_pk_fma_f32 v[0:1], v[0:1], v[16:17], v[6:7] op_sel:[0,1,1] op_sel_hi:[1,1,0]
	v_pk_fma_f32 v[6:7], v[76:77], v[10:11], v[8:9] op_sel:[0,0,1] op_sel_hi:[1,0,0]
	v_mov_b32_e32 v5, v1
	v_pk_fma_f32 v[0:1], v[76:77], v[10:11], v[8:9] op_sel:[0,0,1] op_sel_hi:[1,0,0] neg_lo:[0,0,1] neg_hi:[0,0,1]
	v_mov_b32_e32 v13, v3
	v_mov_b32_e32 v1, v7
	v_pk_add_f32 v[2:3], v[106:107], v[12:13] neg_lo:[0,1] neg_hi:[0,1]
	v_pk_add_f32 v[0:1], v[4:5], v[0:1] neg_lo:[0,1] neg_hi:[0,1]
	s_nop 0
	v_pk_add_f32 v[6:7], v[2:3], v[0:1]
	v_pk_add_f32 v[8:9], v[2:3], v[0:1] neg_lo:[0,1] neg_hi:[0,1]
	v_pk_fma_f32 v[0:1], v[4:5], 2.0, v[0:1] op_sel_hi:[1,0,1] neg_lo:[0,0,1] neg_hi:[0,0,1]
	v_mov_b32_e32 v7, v9
	v_pk_fma_f32 v[8:9], v[2:3], 2.0, v[6:7] op_sel_hi:[1,0,1] neg_lo:[0,0,1] neg_hi:[0,0,1]
	v_pk_fma_f32 v[2:3], v[106:107], 2.0, v[2:3] op_sel_hi:[1,0,1] neg_lo:[0,0,1] neg_hi:[0,0,1]
	s_nop 0
	v_pk_add_f32 v[0:1], v[2:3], v[0:1] op_sel:[0,1] op_sel_hi:[1,0] neg_lo:[0,1] neg_hi:[0,1]
	s_nop 0
	v_pk_fma_f32 v[2:3], v[2:3], 2.0, v[0:1] op_sel_hi:[1,0,1] neg_lo:[0,0,1] neg_hi:[0,0,1]
	ds_write_b64 v162, v[2:3] offset:96
	ds_write2_b64 v161, v[8:9], v[0:1] offset0:25 offset1:38
	ds_write_b64 v161, v[6:7] offset:408
.LBB0_9:
	s_or_b64 exec, exec, s[2:3]
	s_waitcnt lgkmcnt(0)
	; wave barrier
	s_waitcnt lgkmcnt(0)
	ds_read_b64 v[2:3], v159
	v_mov_b32_e32 v4, s0
	v_mov_b32_e32 v5, s1
	v_mad_u64_u32 v[6:7], s[0:1], s6, v72, 0
	v_mov_b32_e32 v0, v7
	v_mad_u64_u32 v[0:1], s[0:1], s7, v72, v[0:1]
	v_mov_b32_e32 v7, v0
	s_waitcnt lgkmcnt(0)
	v_mul_f32_e32 v0, v71, v3
	v_fmac_f32_e32 v0, v70, v2
	s_mov_b32 s0, 0x13b13b14
	v_cvt_f64_f32_e32 v[0:1], v0
	s_mov_b32 s1, 0x3f93b13b
	v_mul_f64 v[0:1], v[0:1], s[0:1]
	v_cvt_f32_f64_e32 v12, v[0:1]
	v_mul_f32_e32 v0, v71, v2
	v_fma_f32 v0, v70, v3, -v0
	v_cvt_f64_f32_e32 v[0:1], v0
	v_mul_f64 v[0:1], v[0:1], s[0:1]
	v_mad_u64_u32 v[14:15], s[2:3], s4, v73, 0
	v_cvt_f32_f64_e32 v13, v[0:1]
	v_mov_b32_e32 v0, v15
	ds_read_b64 v[8:9], v162 offset:96
	ds_read_b64 v[10:11], v158 offset:384
	v_mad_u64_u32 v[16:17], s[2:3], s5, v73, v[0:1]
	ds_read2_b64 v[0:3], v158 offset0:4 offset1:8
	v_lshl_add_u64 v[4:5], v[6:7], 3, v[4:5]
	v_mov_b32_e32 v15, v16
	v_lshl_add_u64 v[4:5], v[14:15], 3, v[4:5]
	s_lshl_b64 s[2:3], s[4:5], 5
	s_waitcnt lgkmcnt(0)
	v_mul_f32_e32 v6, v69, v1
	v_fmac_f32_e32 v6, v68, v0
	v_mul_f32_e32 v0, v69, v0
	v_fma_f32 v0, v68, v1, -v0
	v_cvt_f64_f32_e32 v[6:7], v6
	v_cvt_f64_f32_e32 v[0:1], v0
	v_mul_f64 v[6:7], v[6:7], s[0:1]
	v_mul_f64 v[0:1], v[0:1], s[0:1]
	global_store_dwordx2 v[4:5], v[12:13], off
	v_cvt_f32_f64_e32 v6, v[6:7]
	v_cvt_f32_f64_e32 v7, v[0:1]
	v_lshl_add_u64 v[0:1], v[4:5], 0, s[2:3]
	v_mul_f32_e32 v4, v65, v3
	v_fmac_f32_e32 v4, v64, v2
	v_mul_f32_e32 v2, v65, v2
	global_store_dwordx2 v[0:1], v[6:7], off
	v_fma_f32 v2, v64, v3, -v2
	v_lshl_add_u64 v[6:7], v[0:1], 0, s[2:3]
	v_mul_f32_e32 v0, v67, v9
	v_cvt_f64_f32_e32 v[4:5], v4
	v_cvt_f64_f32_e32 v[2:3], v2
	v_fmac_f32_e32 v0, v66, v8
	v_mul_f64 v[4:5], v[4:5], s[0:1]
	v_mul_f64 v[2:3], v[2:3], s[0:1]
	v_cvt_f64_f32_e32 v[0:1], v0
	v_cvt_f32_f64_e32 v4, v[4:5]
	v_cvt_f32_f64_e32 v5, v[2:3]
	v_mul_f64 v[0:1], v[0:1], s[0:1]
	global_store_dwordx2 v[6:7], v[4:5], off
	v_cvt_f32_f64_e32 v4, v[0:1]
	v_mul_f32_e32 v0, v67, v8
	v_fma_f32 v0, v66, v9, -v0
	v_cvt_f64_f32_e32 v[8:9], v0
	ds_read2_b64 v[0:3], v158 offset0:16 offset1:20
	v_mul_f64 v[8:9], v[8:9], s[0:1]
	v_cvt_f32_f64_e32 v5, v[8:9]
	v_lshl_add_u64 v[6:7], v[6:7], 0, s[2:3]
	global_store_dwordx2 v[6:7], v[4:5], off
	s_waitcnt lgkmcnt(0)
	v_mul_f32_e32 v4, v63, v1
	v_fmac_f32_e32 v4, v62, v0
	v_mul_f32_e32 v0, v63, v0
	v_fma_f32 v0, v62, v1, -v0
	v_cvt_f64_f32_e32 v[4:5], v4
	v_cvt_f64_f32_e32 v[0:1], v0
	v_mul_f64 v[4:5], v[4:5], s[0:1]
	v_mul_f64 v[0:1], v[0:1], s[0:1]
	v_cvt_f32_f64_e32 v4, v[4:5]
	v_cvt_f32_f64_e32 v5, v[0:1]
	v_mul_f32_e32 v0, v61, v3
	v_fmac_f32_e32 v0, v60, v2
	v_cvt_f64_f32_e32 v[0:1], v0
	v_lshl_add_u64 v[6:7], v[6:7], 0, s[2:3]
	v_mul_f64 v[0:1], v[0:1], s[0:1]
	global_store_dwordx2 v[6:7], v[4:5], off
	v_cvt_f32_f64_e32 v4, v[0:1]
	v_mul_f32_e32 v0, v61, v2
	v_fma_f32 v0, v60, v3, -v0
	v_cvt_f64_f32_e32 v[8:9], v0
	ds_read2_b64 v[0:3], v158 offset0:24 offset1:28
	v_mul_f64 v[8:9], v[8:9], s[0:1]
	v_cvt_f32_f64_e32 v5, v[8:9]
	v_lshl_add_u64 v[6:7], v[6:7], 0, s[2:3]
	global_store_dwordx2 v[6:7], v[4:5], off
	s_waitcnt lgkmcnt(0)
	v_mul_f32_e32 v4, v59, v1
	v_fmac_f32_e32 v4, v58, v0
	v_mul_f32_e32 v0, v59, v0
	v_fma_f32 v0, v58, v1, -v0
	v_cvt_f64_f32_e32 v[4:5], v4
	v_cvt_f64_f32_e32 v[0:1], v0
	v_mul_f64 v[4:5], v[4:5], s[0:1]
	v_mul_f64 v[0:1], v[0:1], s[0:1]
	v_cvt_f32_f64_e32 v4, v[4:5]
	v_cvt_f32_f64_e32 v5, v[0:1]
	v_mul_f32_e32 v0, v57, v3
	v_fmac_f32_e32 v0, v56, v2
	v_cvt_f64_f32_e32 v[0:1], v0
	v_lshl_add_u64 v[6:7], v[6:7], 0, s[2:3]
	;; [unrolled: 26-line block ×3, first 2 shown]
	v_mul_f64 v[0:1], v[0:1], s[0:1]
	global_store_dwordx2 v[6:7], v[4:5], off
	v_cvt_f32_f64_e32 v4, v[0:1]
	v_mul_f32_e32 v0, v53, v2
	v_fma_f32 v0, v52, v3, -v0
	v_cvt_f64_f32_e32 v[8:9], v0
	ds_read2_b64 v[0:3], v158 offset0:40 offset1:44
	v_mul_f64 v[8:9], v[8:9], s[0:1]
	v_cvt_f32_f64_e32 v5, v[8:9]
	v_lshl_add_u64 v[6:7], v[6:7], 0, s[2:3]
	global_store_dwordx2 v[6:7], v[4:5], off
	s_waitcnt lgkmcnt(0)
	v_mul_f32_e32 v4, v51, v1
	v_fmac_f32_e32 v4, v50, v0
	v_mul_f32_e32 v0, v51, v0
	v_fma_f32 v0, v50, v1, -v0
	v_cvt_f64_f32_e32 v[4:5], v4
	v_cvt_f64_f32_e32 v[0:1], v0
	v_mul_f64 v[4:5], v[4:5], s[0:1]
	v_mul_f64 v[0:1], v[0:1], s[0:1]
	v_cvt_f32_f64_e32 v4, v[4:5]
	v_cvt_f32_f64_e32 v5, v[0:1]
	v_lshl_add_u64 v[0:1], v[6:7], 0, s[2:3]
	global_store_dwordx2 v[0:1], v[4:5], off
	v_mul_f32_e32 v4, v49, v3
	v_fmac_f32_e32 v4, v48, v2
	v_mul_f32_e32 v2, v49, v2
	v_fma_f32 v2, v48, v3, -v2
	v_cvt_f64_f32_e32 v[4:5], v4
	v_cvt_f64_f32_e32 v[2:3], v2
	v_mul_f64 v[4:5], v[4:5], s[0:1]
	v_mul_f64 v[2:3], v[2:3], s[0:1]
	v_cvt_f32_f64_e32 v4, v[4:5]
	v_cvt_f32_f64_e32 v5, v[2:3]
	v_mul_f32_e32 v2, v47, v11
	v_fmac_f32_e32 v2, v46, v10
	v_cvt_f64_f32_e32 v[2:3], v2
	v_mul_f64 v[2:3], v[2:3], s[0:1]
	v_cvt_f32_f64_e32 v2, v[2:3]
	v_mul_f32_e32 v3, v47, v10
	v_lshl_add_u64 v[0:1], v[0:1], 0, s[2:3]
	v_fma_f32 v3, v46, v11, -v3
	global_store_dwordx2 v[0:1], v[4:5], off
	v_cvt_f64_f32_e32 v[4:5], v3
	v_mul_f64 v[4:5], v[4:5], s[0:1]
	v_cvt_f32_f64_e32 v3, v[4:5]
	v_lshl_add_u64 v[0:1], v[0:1], 0, s[2:3]
	global_store_dwordx2 v[0:1], v[2:3], off
.LBB0_10:
	s_endpgm
	.section	.rodata,"a",@progbits
	.p2align	6, 0x0
	.amdhsa_kernel bluestein_single_back_len52_dim1_sp_op_CI_CI
		.amdhsa_group_segment_fixed_size 6656
		.amdhsa_private_segment_fixed_size 0
		.amdhsa_kernarg_size 104
		.amdhsa_user_sgpr_count 2
		.amdhsa_user_sgpr_dispatch_ptr 0
		.amdhsa_user_sgpr_queue_ptr 0
		.amdhsa_user_sgpr_kernarg_segment_ptr 1
		.amdhsa_user_sgpr_dispatch_id 0
		.amdhsa_user_sgpr_kernarg_preload_length 0
		.amdhsa_user_sgpr_kernarg_preload_offset 0
		.amdhsa_user_sgpr_private_segment_size 0
		.amdhsa_uses_dynamic_stack 0
		.amdhsa_enable_private_segment 0
		.amdhsa_system_sgpr_workgroup_id_x 1
		.amdhsa_system_sgpr_workgroup_id_y 0
		.amdhsa_system_sgpr_workgroup_id_z 0
		.amdhsa_system_sgpr_workgroup_info 0
		.amdhsa_system_vgpr_workitem_id 0
		.amdhsa_next_free_vgpr 218
		.amdhsa_next_free_sgpr 42
		.amdhsa_accum_offset 220
		.amdhsa_reserve_vcc 1
		.amdhsa_float_round_mode_32 0
		.amdhsa_float_round_mode_16_64 0
		.amdhsa_float_denorm_mode_32 3
		.amdhsa_float_denorm_mode_16_64 3
		.amdhsa_dx10_clamp 1
		.amdhsa_ieee_mode 1
		.amdhsa_fp16_overflow 0
		.amdhsa_tg_split 0
		.amdhsa_exception_fp_ieee_invalid_op 0
		.amdhsa_exception_fp_denorm_src 0
		.amdhsa_exception_fp_ieee_div_zero 0
		.amdhsa_exception_fp_ieee_overflow 0
		.amdhsa_exception_fp_ieee_underflow 0
		.amdhsa_exception_fp_ieee_inexact 0
		.amdhsa_exception_int_div_zero 0
	.end_amdhsa_kernel
	.text
.Lfunc_end0:
	.size	bluestein_single_back_len52_dim1_sp_op_CI_CI, .Lfunc_end0-bluestein_single_back_len52_dim1_sp_op_CI_CI
                                        ; -- End function
	.section	.AMDGPU.csdata,"",@progbits
; Kernel info:
; codeLenInByte = 9388
; NumSgprs: 48
; NumVgprs: 218
; NumAgprs: 0
; TotalNumVgprs: 218
; ScratchSize: 0
; MemoryBound: 0
; FloatMode: 240
; IeeeMode: 1
; LDSByteSize: 6656 bytes/workgroup (compile time only)
; SGPRBlocks: 5
; VGPRBlocks: 27
; NumSGPRsForWavesPerEU: 48
; NumVGPRsForWavesPerEU: 218
; AccumOffset: 220
; Occupancy: 2
; WaveLimiterHint : 1
; COMPUTE_PGM_RSRC2:SCRATCH_EN: 0
; COMPUTE_PGM_RSRC2:USER_SGPR: 2
; COMPUTE_PGM_RSRC2:TRAP_HANDLER: 0
; COMPUTE_PGM_RSRC2:TGID_X_EN: 1
; COMPUTE_PGM_RSRC2:TGID_Y_EN: 0
; COMPUTE_PGM_RSRC2:TGID_Z_EN: 0
; COMPUTE_PGM_RSRC2:TIDIG_COMP_CNT: 0
; COMPUTE_PGM_RSRC3_GFX90A:ACCUM_OFFSET: 54
; COMPUTE_PGM_RSRC3_GFX90A:TG_SPLIT: 0
	.text
	.p2alignl 6, 3212836864
	.fill 256, 4, 3212836864
	.type	__hip_cuid_b2b1167c12595d2,@object ; @__hip_cuid_b2b1167c12595d2
	.section	.bss,"aw",@nobits
	.globl	__hip_cuid_b2b1167c12595d2
__hip_cuid_b2b1167c12595d2:
	.byte	0                               ; 0x0
	.size	__hip_cuid_b2b1167c12595d2, 1

	.ident	"AMD clang version 19.0.0git (https://github.com/RadeonOpenCompute/llvm-project roc-6.4.0 25133 c7fe45cf4b819c5991fe208aaa96edf142730f1d)"
	.section	".note.GNU-stack","",@progbits
	.addrsig
	.addrsig_sym __hip_cuid_b2b1167c12595d2
	.amdgpu_metadata
---
amdhsa.kernels:
  - .agpr_count:     0
    .args:
      - .actual_access:  read_only
        .address_space:  global
        .offset:         0
        .size:           8
        .value_kind:     global_buffer
      - .actual_access:  read_only
        .address_space:  global
        .offset:         8
        .size:           8
        .value_kind:     global_buffer
      - .actual_access:  read_only
        .address_space:  global
        .offset:         16
        .size:           8
        .value_kind:     global_buffer
      - .actual_access:  read_only
        .address_space:  global
        .offset:         24
        .size:           8
        .value_kind:     global_buffer
      - .actual_access:  read_only
        .address_space:  global
        .offset:         32
        .size:           8
        .value_kind:     global_buffer
      - .offset:         40
        .size:           8
        .value_kind:     by_value
      - .address_space:  global
        .offset:         48
        .size:           8
        .value_kind:     global_buffer
      - .address_space:  global
        .offset:         56
        .size:           8
        .value_kind:     global_buffer
      - .address_space:  global
        .offset:         64
        .size:           8
        .value_kind:     global_buffer
      - .address_space:  global
        .offset:         72
        .size:           8
        .value_kind:     global_buffer
      - .offset:         80
        .size:           4
        .value_kind:     by_value
      - .address_space:  global
        .offset:         88
        .size:           8
        .value_kind:     global_buffer
      - .address_space:  global
        .offset:         96
        .size:           8
        .value_kind:     global_buffer
    .group_segment_fixed_size: 6656
    .kernarg_segment_align: 8
    .kernarg_segment_size: 104
    .language:       OpenCL C
    .language_version:
      - 2
      - 0
    .max_flat_workgroup_size: 64
    .name:           bluestein_single_back_len52_dim1_sp_op_CI_CI
    .private_segment_fixed_size: 0
    .sgpr_count:     48
    .sgpr_spill_count: 0
    .symbol:         bluestein_single_back_len52_dim1_sp_op_CI_CI.kd
    .uniform_work_group_size: 1
    .uses_dynamic_stack: false
    .vgpr_count:     218
    .vgpr_spill_count: 0
    .wavefront_size: 64
amdhsa.target:   amdgcn-amd-amdhsa--gfx950
amdhsa.version:
  - 1
  - 2
...

	.end_amdgpu_metadata
